;; amdgpu-corpus repo=ROCm/rocFFT kind=compiled arch=gfx1100 opt=O3
	.text
	.amdgcn_target "amdgcn-amd-amdhsa--gfx1100"
	.amdhsa_code_object_version 6
	.protected	fft_rtc_fwd_len3750_factors_3_5_5_10_5_wgs_125_tpt_125_halfLds_dp_op_CI_CI_unitstride_sbrr_C2R_dirReg ; -- Begin function fft_rtc_fwd_len3750_factors_3_5_5_10_5_wgs_125_tpt_125_halfLds_dp_op_CI_CI_unitstride_sbrr_C2R_dirReg
	.globl	fft_rtc_fwd_len3750_factors_3_5_5_10_5_wgs_125_tpt_125_halfLds_dp_op_CI_CI_unitstride_sbrr_C2R_dirReg
	.p2align	8
	.type	fft_rtc_fwd_len3750_factors_3_5_5_10_5_wgs_125_tpt_125_halfLds_dp_op_CI_CI_unitstride_sbrr_C2R_dirReg,@function
fft_rtc_fwd_len3750_factors_3_5_5_10_5_wgs_125_tpt_125_halfLds_dp_op_CI_CI_unitstride_sbrr_C2R_dirReg: ; @fft_rtc_fwd_len3750_factors_3_5_5_10_5_wgs_125_tpt_125_halfLds_dp_op_CI_CI_unitstride_sbrr_C2R_dirReg
; %bb.0:
	s_clause 0x2
	s_load_b128 s[8:11], s[0:1], 0x0
	s_load_b128 s[4:7], s[0:1], 0x58
	;; [unrolled: 1-line block ×3, first 2 shown]
	v_mul_u32_u24_e32 v1, 0x20d, v0
	v_mov_b32_e32 v3, 0
	s_delay_alu instid0(VALU_DEP_2) | instskip(NEXT) | instid1(VALU_DEP_1)
	v_lshrrev_b32_e32 v1, 16, v1
	v_add_nc_u32_e32 v5, s15, v1
	v_mov_b32_e32 v1, 0
	v_mov_b32_e32 v2, 0
	;; [unrolled: 1-line block ×3, first 2 shown]
	s_waitcnt lgkmcnt(0)
	v_cmp_lt_u64_e64 s2, s[10:11], 2
	s_delay_alu instid0(VALU_DEP_1)
	s_and_b32 vcc_lo, exec_lo, s2
	s_cbranch_vccnz .LBB0_8
; %bb.1:
	s_load_b64 s[2:3], s[0:1], 0x10
	v_mov_b32_e32 v1, 0
	v_mov_b32_e32 v2, 0
	s_add_u32 s12, s18, 8
	s_addc_u32 s13, s19, 0
	s_add_u32 s14, s16, 8
	s_addc_u32 s15, s17, 0
	v_dual_mov_b32 v143, v2 :: v_dual_mov_b32 v142, v1
	s_mov_b64 s[22:23], 1
	s_waitcnt lgkmcnt(0)
	s_add_u32 s20, s2, 8
	s_addc_u32 s21, s3, 0
.LBB0_2:                                ; =>This Inner Loop Header: Depth=1
	s_load_b64 s[24:25], s[20:21], 0x0
                                        ; implicit-def: $vgpr7_vgpr8
                                        ; kill: killed $vgpr7_vgpr8
	s_mov_b32 s2, exec_lo
	s_waitcnt lgkmcnt(0)
	v_or_b32_e32 v4, s25, v6
	s_delay_alu instid0(VALU_DEP_1)
	v_cmpx_ne_u64_e32 0, v[3:4]
	s_xor_b32 s3, exec_lo, s2
	s_cbranch_execz .LBB0_4
; %bb.3:                                ;   in Loop: Header=BB0_2 Depth=1
	v_cvt_f32_u32_e32 v4, s24
	v_cvt_f32_u32_e32 v7, s25
	s_sub_u32 s2, 0, s24
	s_subb_u32 s26, 0, s25
	s_delay_alu instid0(VALU_DEP_1) | instskip(NEXT) | instid1(VALU_DEP_1)
	v_fmac_f32_e32 v4, 0x4f800000, v7
	v_rcp_f32_e32 v4, v4
	s_waitcnt_depctr 0xfff
	v_mul_f32_e32 v4, 0x5f7ffffc, v4
	s_delay_alu instid0(VALU_DEP_1) | instskip(NEXT) | instid1(VALU_DEP_1)
	v_mul_f32_e32 v7, 0x2f800000, v4
	v_trunc_f32_e32 v7, v7
	s_delay_alu instid0(VALU_DEP_1) | instskip(SKIP_1) | instid1(VALU_DEP_2)
	v_fmac_f32_e32 v4, 0xcf800000, v7
	v_cvt_u32_f32_e32 v7, v7
	v_cvt_u32_f32_e32 v4, v4
	s_delay_alu instid0(VALU_DEP_2) | instskip(NEXT) | instid1(VALU_DEP_2)
	v_mul_lo_u32 v8, s2, v7
	v_mul_hi_u32 v9, s2, v4
	v_mul_lo_u32 v10, s26, v4
	s_delay_alu instid0(VALU_DEP_2) | instskip(SKIP_1) | instid1(VALU_DEP_2)
	v_add_nc_u32_e32 v8, v9, v8
	v_mul_lo_u32 v9, s2, v4
	v_add_nc_u32_e32 v8, v8, v10
	s_delay_alu instid0(VALU_DEP_2) | instskip(NEXT) | instid1(VALU_DEP_2)
	v_mul_hi_u32 v10, v4, v9
	v_mul_lo_u32 v11, v4, v8
	v_mul_hi_u32 v12, v4, v8
	v_mul_hi_u32 v13, v7, v9
	v_mul_lo_u32 v9, v7, v9
	v_mul_hi_u32 v14, v7, v8
	v_mul_lo_u32 v8, v7, v8
	v_add_co_u32 v10, vcc_lo, v10, v11
	v_add_co_ci_u32_e32 v11, vcc_lo, 0, v12, vcc_lo
	s_delay_alu instid0(VALU_DEP_2) | instskip(NEXT) | instid1(VALU_DEP_2)
	v_add_co_u32 v9, vcc_lo, v10, v9
	v_add_co_ci_u32_e32 v9, vcc_lo, v11, v13, vcc_lo
	v_add_co_ci_u32_e32 v10, vcc_lo, 0, v14, vcc_lo
	s_delay_alu instid0(VALU_DEP_2) | instskip(NEXT) | instid1(VALU_DEP_2)
	v_add_co_u32 v8, vcc_lo, v9, v8
	v_add_co_ci_u32_e32 v9, vcc_lo, 0, v10, vcc_lo
	s_delay_alu instid0(VALU_DEP_2) | instskip(NEXT) | instid1(VALU_DEP_2)
	v_add_co_u32 v4, vcc_lo, v4, v8
	v_add_co_ci_u32_e32 v7, vcc_lo, v7, v9, vcc_lo
	s_delay_alu instid0(VALU_DEP_2) | instskip(SKIP_1) | instid1(VALU_DEP_3)
	v_mul_hi_u32 v8, s2, v4
	v_mul_lo_u32 v10, s26, v4
	v_mul_lo_u32 v9, s2, v7
	s_delay_alu instid0(VALU_DEP_1) | instskip(SKIP_1) | instid1(VALU_DEP_2)
	v_add_nc_u32_e32 v8, v8, v9
	v_mul_lo_u32 v9, s2, v4
	v_add_nc_u32_e32 v8, v8, v10
	s_delay_alu instid0(VALU_DEP_2) | instskip(NEXT) | instid1(VALU_DEP_2)
	v_mul_hi_u32 v10, v4, v9
	v_mul_lo_u32 v11, v4, v8
	v_mul_hi_u32 v12, v4, v8
	v_mul_hi_u32 v13, v7, v9
	v_mul_lo_u32 v9, v7, v9
	v_mul_hi_u32 v14, v7, v8
	v_mul_lo_u32 v8, v7, v8
	v_add_co_u32 v10, vcc_lo, v10, v11
	v_add_co_ci_u32_e32 v11, vcc_lo, 0, v12, vcc_lo
	s_delay_alu instid0(VALU_DEP_2) | instskip(NEXT) | instid1(VALU_DEP_2)
	v_add_co_u32 v9, vcc_lo, v10, v9
	v_add_co_ci_u32_e32 v9, vcc_lo, v11, v13, vcc_lo
	v_add_co_ci_u32_e32 v10, vcc_lo, 0, v14, vcc_lo
	s_delay_alu instid0(VALU_DEP_2) | instskip(NEXT) | instid1(VALU_DEP_2)
	v_add_co_u32 v8, vcc_lo, v9, v8
	v_add_co_ci_u32_e32 v9, vcc_lo, 0, v10, vcc_lo
	s_delay_alu instid0(VALU_DEP_2) | instskip(NEXT) | instid1(VALU_DEP_2)
	v_add_co_u32 v4, vcc_lo, v4, v8
	v_add_co_ci_u32_e32 v13, vcc_lo, v7, v9, vcc_lo
	s_delay_alu instid0(VALU_DEP_2) | instskip(SKIP_1) | instid1(VALU_DEP_3)
	v_mul_hi_u32 v14, v5, v4
	v_mad_u64_u32 v[9:10], null, v6, v4, 0
	v_mad_u64_u32 v[7:8], null, v5, v13, 0
	;; [unrolled: 1-line block ×3, first 2 shown]
	s_delay_alu instid0(VALU_DEP_2) | instskip(NEXT) | instid1(VALU_DEP_3)
	v_add_co_u32 v4, vcc_lo, v14, v7
	v_add_co_ci_u32_e32 v7, vcc_lo, 0, v8, vcc_lo
	s_delay_alu instid0(VALU_DEP_2) | instskip(NEXT) | instid1(VALU_DEP_2)
	v_add_co_u32 v4, vcc_lo, v4, v9
	v_add_co_ci_u32_e32 v4, vcc_lo, v7, v10, vcc_lo
	v_add_co_ci_u32_e32 v7, vcc_lo, 0, v12, vcc_lo
	s_delay_alu instid0(VALU_DEP_2) | instskip(NEXT) | instid1(VALU_DEP_2)
	v_add_co_u32 v4, vcc_lo, v4, v11
	v_add_co_ci_u32_e32 v9, vcc_lo, 0, v7, vcc_lo
	s_delay_alu instid0(VALU_DEP_2) | instskip(SKIP_1) | instid1(VALU_DEP_3)
	v_mul_lo_u32 v10, s25, v4
	v_mad_u64_u32 v[7:8], null, s24, v4, 0
	v_mul_lo_u32 v11, s24, v9
	s_delay_alu instid0(VALU_DEP_2) | instskip(NEXT) | instid1(VALU_DEP_2)
	v_sub_co_u32 v7, vcc_lo, v5, v7
	v_add3_u32 v8, v8, v11, v10
	s_delay_alu instid0(VALU_DEP_1) | instskip(NEXT) | instid1(VALU_DEP_1)
	v_sub_nc_u32_e32 v10, v6, v8
	v_subrev_co_ci_u32_e64 v10, s2, s25, v10, vcc_lo
	v_add_co_u32 v11, s2, v4, 2
	s_delay_alu instid0(VALU_DEP_1) | instskip(SKIP_3) | instid1(VALU_DEP_3)
	v_add_co_ci_u32_e64 v12, s2, 0, v9, s2
	v_sub_co_u32 v13, s2, v7, s24
	v_sub_co_ci_u32_e32 v8, vcc_lo, v6, v8, vcc_lo
	v_subrev_co_ci_u32_e64 v10, s2, 0, v10, s2
	v_cmp_le_u32_e32 vcc_lo, s24, v13
	s_delay_alu instid0(VALU_DEP_3) | instskip(SKIP_1) | instid1(VALU_DEP_4)
	v_cmp_eq_u32_e64 s2, s25, v8
	v_cndmask_b32_e64 v13, 0, -1, vcc_lo
	v_cmp_le_u32_e32 vcc_lo, s25, v10
	v_cndmask_b32_e64 v14, 0, -1, vcc_lo
	v_cmp_le_u32_e32 vcc_lo, s24, v7
	;; [unrolled: 2-line block ×3, first 2 shown]
	v_cndmask_b32_e64 v15, 0, -1, vcc_lo
	v_cmp_eq_u32_e32 vcc_lo, s25, v10
	s_delay_alu instid0(VALU_DEP_2) | instskip(SKIP_3) | instid1(VALU_DEP_3)
	v_cndmask_b32_e64 v7, v15, v7, s2
	v_cndmask_b32_e32 v10, v14, v13, vcc_lo
	v_add_co_u32 v13, vcc_lo, v4, 1
	v_add_co_ci_u32_e32 v14, vcc_lo, 0, v9, vcc_lo
	v_cmp_ne_u32_e32 vcc_lo, 0, v10
	s_delay_alu instid0(VALU_DEP_2) | instskip(NEXT) | instid1(VALU_DEP_4)
	v_cndmask_b32_e32 v8, v14, v12, vcc_lo
	v_cndmask_b32_e32 v10, v13, v11, vcc_lo
	v_cmp_ne_u32_e32 vcc_lo, 0, v7
	s_delay_alu instid0(VALU_DEP_2)
	v_dual_cndmask_b32 v7, v4, v10 :: v_dual_cndmask_b32 v8, v9, v8
	scratch_store_b64 off, v[7:8], off      ; 8-byte Folded Spill
.LBB0_4:                                ;   in Loop: Header=BB0_2 Depth=1
	s_and_not1_saveexec_b32 s2, s3
	s_cbranch_execz .LBB0_6
; %bb.5:                                ;   in Loop: Header=BB0_2 Depth=1
	v_cvt_f32_u32_e32 v4, s24
	s_sub_i32 s3, 0, s24
	s_delay_alu instid0(VALU_DEP_1) | instskip(SKIP_2) | instid1(VALU_DEP_1)
	v_rcp_iflag_f32_e32 v4, v4
	s_waitcnt_depctr 0xfff
	v_mul_f32_e32 v4, 0x4f7ffffe, v4
	v_cvt_u32_f32_e32 v4, v4
	s_delay_alu instid0(VALU_DEP_1) | instskip(NEXT) | instid1(VALU_DEP_1)
	v_mul_lo_u32 v7, s3, v4
	v_mul_hi_u32 v7, v4, v7
	s_delay_alu instid0(VALU_DEP_1) | instskip(NEXT) | instid1(VALU_DEP_1)
	v_add_nc_u32_e32 v4, v4, v7
	v_mul_hi_u32 v4, v5, v4
	s_delay_alu instid0(VALU_DEP_1) | instskip(SKIP_1) | instid1(VALU_DEP_2)
	v_mul_lo_u32 v7, v4, s24
	v_add_nc_u32_e32 v8, 1, v4
	v_sub_nc_u32_e32 v7, v5, v7
	s_delay_alu instid0(VALU_DEP_1) | instskip(SKIP_1) | instid1(VALU_DEP_2)
	v_subrev_nc_u32_e32 v9, s24, v7
	v_cmp_le_u32_e32 vcc_lo, s24, v7
	v_dual_cndmask_b32 v7, v7, v9 :: v_dual_cndmask_b32 v4, v4, v8
	s_delay_alu instid0(VALU_DEP_1) | instskip(NEXT) | instid1(VALU_DEP_2)
	v_cmp_le_u32_e32 vcc_lo, s24, v7
	v_add_nc_u32_e32 v8, 1, v4
	s_delay_alu instid0(VALU_DEP_1)
	v_dual_cndmask_b32 v7, v4, v8 :: v_dual_mov_b32 v8, v3
	scratch_store_b64 off, v[7:8], off      ; 8-byte Folded Spill
.LBB0_6:                                ;   in Loop: Header=BB0_2 Depth=1
	s_or_b32 exec_lo, exec_lo, s2
	scratch_load_b64 v[13:14], off, off     ; 8-byte Folded Reload
	s_load_b64 s[2:3], s[14:15], 0x0
	s_add_u32 s22, s22, 1
	s_addc_u32 s23, s23, 0
	s_waitcnt vmcnt(0)
	v_mul_lo_u32 v4, v14, s24
	v_mul_lo_u32 v9, v13, s25
	v_mad_u64_u32 v[7:8], null, v13, s24, 0
	s_load_b64 s[24:25], s[12:13], 0x0
	s_add_u32 s12, s12, 8
	s_addc_u32 s13, s13, 0
	s_add_u32 s14, s14, 8
	s_addc_u32 s15, s15, 0
	s_add_u32 s20, s20, 8
	s_delay_alu instid0(VALU_DEP_1) | instskip(SKIP_2) | instid1(VALU_DEP_2)
	v_add3_u32 v4, v8, v9, v4
	v_sub_co_u32 v8, vcc_lo, v5, v7
	s_addc_u32 s21, s21, 0
	v_sub_co_ci_u32_e32 v6, vcc_lo, v6, v4, vcc_lo
	s_waitcnt lgkmcnt(0)
	s_delay_alu instid0(VALU_DEP_2) | instskip(SKIP_1) | instid1(VALU_DEP_3)
	v_mul_lo_u32 v10, s3, v8
	v_mad_u64_u32 v[4:5], null, s2, v8, v[1:2]
	v_mul_lo_u32 v9, s2, v6
	v_cmp_ge_u64_e64 s2, s[22:23], s[10:11]
	v_mul_lo_u32 v11, s24, v6
	v_mul_lo_u32 v12, s25, v8
	v_mad_u64_u32 v[6:7], null, s24, v8, v[142:143]
	v_add3_u32 v2, v10, v5, v9
	v_mov_b32_e32 v1, v4
	s_and_b32 vcc_lo, exec_lo, s2
	s_delay_alu instid0(VALU_DEP_3) | instskip(NEXT) | instid1(VALU_DEP_4)
	v_mov_b32_e32 v142, v6
	v_add3_u32 v143, v12, v7, v11
	s_cbranch_vccnz .LBB0_9
; %bb.7:                                ;   in Loop: Header=BB0_2 Depth=1
	v_dual_mov_b32 v5, v13 :: v_dual_mov_b32 v6, v14
	s_branch .LBB0_2
.LBB0_8:
	v_dual_mov_b32 v143, v2 :: v_dual_mov_b32 v142, v1
	scratch_store_b64 off, v[5:6], off      ; 8-byte Folded Spill
.LBB0_9:
	scratch_load_b64 v[4:5], off, off       ; 8-byte Folded Reload
	s_load_b64 s[0:1], s[0:1], 0x28
	v_mul_hi_u32 v3, 0x20c49bb, v0
	s_lshl_b64 s[10:11], s[10:11], 3
                                        ; implicit-def: $vgpr145
	s_delay_alu instid0(SALU_CYCLE_1) | instskip(SKIP_4) | instid1(VALU_DEP_1)
	s_add_u32 s2, s18, s10
	s_addc_u32 s3, s19, s11
	s_waitcnt vmcnt(0) lgkmcnt(0)
	v_cmp_gt_u64_e32 vcc_lo, s[0:1], v[4:5]
	v_cmp_le_u64_e64 s0, s[0:1], v[4:5]
	s_and_saveexec_b32 s1, s0
	s_delay_alu instid0(SALU_CYCLE_1)
	s_xor_b32 s0, exec_lo, s1
; %bb.10:
	v_mul_u32_u24_e32 v1, 0x7d, v3
                                        ; implicit-def: $vgpr3
	s_delay_alu instid0(VALU_DEP_1)
	v_sub_nc_u32_e32 v145, v0, v1
                                        ; implicit-def: $vgpr0
                                        ; implicit-def: $vgpr1_vgpr2
; %bb.11:
	s_or_saveexec_b32 s1, s0
	s_load_b64 s[2:3], s[2:3], 0x0
	s_xor_b32 exec_lo, exec_lo, s1
	s_cbranch_execz .LBB0_15
; %bb.12:
	scratch_load_b64 v[8:9], off, off       ; 8-byte Folded Reload
	s_add_u32 s10, s16, s10
	s_addc_u32 s11, s17, s11
	v_lshlrev_b64 v[1:2], 4, v[1:2]
	s_load_b64 s[10:11], s[10:11], 0x0
	s_waitcnt vmcnt(0) lgkmcnt(0)
	v_mul_lo_u32 v6, s11, v8
	v_mul_lo_u32 v7, s10, v9
	v_mad_u64_u32 v[4:5], null, s10, v8, 0
	s_delay_alu instid0(VALU_DEP_1) | instskip(SKIP_1) | instid1(VALU_DEP_2)
	v_add3_u32 v5, v5, v7, v6
	v_mul_u32_u24_e32 v6, 0x7d, v3
	v_lshlrev_b64 v[3:4], 4, v[4:5]
	s_delay_alu instid0(VALU_DEP_2) | instskip(NEXT) | instid1(VALU_DEP_1)
	v_sub_nc_u32_e32 v145, v0, v6
	v_lshlrev_b32_e32 v122, 4, v145
	s_delay_alu instid0(VALU_DEP_3) | instskip(NEXT) | instid1(VALU_DEP_1)
	v_add_co_u32 v0, s0, s4, v3
	v_add_co_ci_u32_e64 v3, s0, s5, v4, s0
	s_delay_alu instid0(VALU_DEP_2) | instskip(NEXT) | instid1(VALU_DEP_1)
	v_add_co_u32 v0, s0, v0, v1
	v_add_co_ci_u32_e64 v1, s0, v3, v2, s0
	s_delay_alu instid0(VALU_DEP_2) | instskip(NEXT) | instid1(VALU_DEP_1)
	v_add_co_u32 v114, s0, v0, v122
	v_add_co_ci_u32_e64 v115, s0, 0, v1, s0
	v_add_nc_u32_e32 v122, 0, v122
	s_delay_alu instid0(VALU_DEP_3) | instskip(NEXT) | instid1(VALU_DEP_1)
	v_add_co_u32 v14, s0, 0x1000, v114
	v_add_co_ci_u32_e64 v15, s0, 0, v115, s0
	v_add_co_u32 v22, s0, 0x2000, v114
	s_delay_alu instid0(VALU_DEP_1) | instskip(SKIP_1) | instid1(VALU_DEP_1)
	v_add_co_ci_u32_e64 v23, s0, 0, v115, s0
	v_add_co_u32 v30, s0, 0x3000, v114
	v_add_co_ci_u32_e64 v31, s0, 0, v115, s0
	v_add_co_u32 v38, s0, 0x4000, v114
	s_delay_alu instid0(VALU_DEP_1) | instskip(SKIP_1) | instid1(VALU_DEP_1)
	v_add_co_ci_u32_e64 v39, s0, 0, v115, s0
	;; [unrolled: 5-line block ×6, first 2 shown]
	v_add_co_u32 v110, s0, 0xd000, v114
	v_add_co_ci_u32_e64 v111, s0, 0, v115, s0
	v_add_co_u32 v118, s0, 0xe000, v114
	s_delay_alu instid0(VALU_DEP_1)
	v_add_co_ci_u32_e64 v119, s0, 0, v115, s0
	s_clause 0x1d
	global_load_b128 v[2:5], v[114:115], off offset:2000
	global_load_b128 v[6:9], v[114:115], off offset:4000
	;; [unrolled: 1-line block ×28, first 2 shown]
	global_load_b128 v[114:117], v[114:115], off
	global_load_b128 v[118:121], v[118:119], off offset:656
	v_cmp_eq_u32_e64 s0, 0x7c, v145
	s_waitcnt vmcnt(29)
	ds_store_b128 v122, v[2:5] offset:2000
	s_waitcnt vmcnt(28)
	ds_store_b128 v122, v[6:9] offset:4000
	;; [unrolled: 2-line block ×28, first 2 shown]
	s_waitcnt vmcnt(1)
	ds_store_b128 v122, v[114:117]
	s_waitcnt vmcnt(0)
	ds_store_b128 v122, v[118:121] offset:58000
	s_and_saveexec_b32 s4, s0
	s_cbranch_execz .LBB0_14
; %bb.13:
	v_add_co_u32 v0, s0, 0xe000, v0
	s_delay_alu instid0(VALU_DEP_1)
	v_add_co_ci_u32_e64 v1, s0, 0, v1, s0
	v_dual_mov_b32 v4, 0 :: v_dual_mov_b32 v145, 0x7c
	global_load_b128 v[0:3], v[0:1], off offset:2656
	s_waitcnt vmcnt(0)
	ds_store_b128 v4, v[0:3] offset:60000
.LBB0_14:
	s_or_b32 exec_lo, exec_lo, s4
.LBB0_15:
	s_delay_alu instid0(SALU_CYCLE_1)
	s_or_b32 exec_lo, exec_lo, s1
	v_lshlrev_b32_e32 v0, 4, v145
	s_waitcnt lgkmcnt(0)
	s_waitcnt_vscnt null, 0x0
	s_barrier
	buffer_gl0_inv
	s_add_u32 s1, s8, 0xea30
	v_add_nc_u32_e32 v224, 0, v0
	v_sub_nc_u32_e32 v10, 0, v0
	s_addc_u32 s4, s9, 0
	s_mov_b32 s5, exec_lo
                                        ; implicit-def: $vgpr4_vgpr5
	ds_load_b64 v[6:7], v224
	ds_load_b64 v[8:9], v10 offset:60000
	s_waitcnt lgkmcnt(0)
	v_add_f64 v[0:1], v[6:7], v[8:9]
	v_add_f64 v[2:3], v[6:7], -v[8:9]
	v_cmpx_ne_u32_e32 0, v145
	s_xor_b32 s5, exec_lo, s5
	s_cbranch_execz .LBB0_17
; %bb.16:
	v_mov_b32_e32 v146, 0
	v_add_f64 v[13:14], v[6:7], v[8:9]
	v_add_f64 v[15:16], v[6:7], -v[8:9]
	s_delay_alu instid0(VALU_DEP_3) | instskip(NEXT) | instid1(VALU_DEP_1)
	v_lshlrev_b64 v[0:1], 4, v[145:146]
	v_add_co_u32 v0, s0, s1, v0
	s_delay_alu instid0(VALU_DEP_1)
	v_add_co_ci_u32_e64 v1, s0, s4, v1, s0
	global_load_b128 v[2:5], v[0:1], off
	ds_load_b64 v[0:1], v10 offset:60008
	ds_load_b64 v[11:12], v224 offset:8
	s_waitcnt lgkmcnt(0)
	v_add_f64 v[6:7], v[0:1], v[11:12]
	v_add_f64 v[0:1], v[11:12], -v[0:1]
	s_waitcnt vmcnt(0)
	v_fma_f64 v[8:9], v[15:16], v[4:5], v[13:14]
	v_fma_f64 v[11:12], -v[15:16], v[4:5], v[13:14]
	s_delay_alu instid0(VALU_DEP_3) | instskip(SKIP_1) | instid1(VALU_DEP_4)
	v_fma_f64 v[13:14], v[6:7], v[4:5], -v[0:1]
	v_fma_f64 v[4:5], v[6:7], v[4:5], v[0:1]
	v_fma_f64 v[0:1], -v[6:7], v[2:3], v[8:9]
	s_delay_alu instid0(VALU_DEP_4) | instskip(NEXT) | instid1(VALU_DEP_4)
	v_fma_f64 v[6:7], v[6:7], v[2:3], v[11:12]
	v_fma_f64 v[8:9], v[15:16], v[2:3], v[13:14]
	s_delay_alu instid0(VALU_DEP_4)
	v_fma_f64 v[2:3], v[15:16], v[2:3], v[4:5]
	v_dual_mov_b32 v4, v145 :: v_dual_mov_b32 v5, v146
	ds_store_b128 v10, v[6:9] offset:60000
.LBB0_17:
	s_and_not1_saveexec_b32 s0, s5
	s_cbranch_execz .LBB0_19
; %bb.18:
	v_mov_b32_e32 v8, 0
	ds_load_b128 v[4:7], v8 offset:30000
	s_waitcnt lgkmcnt(0)
	v_add_f64 v[11:12], v[4:5], v[4:5]
	v_mul_f64 v[13:14], v[6:7], -2.0
	v_mov_b32_e32 v4, 0
	v_mov_b32_e32 v5, 0
	ds_store_b128 v8, v[11:14] offset:30000
.LBB0_19:
	s_or_b32 exec_lo, exec_lo, s0
	v_lshlrev_b64 v[4:5], 4, v[4:5]
	s_mov_b32 s5, 0xbfebb67a
	s_mov_b32 s12, 0x134454ff
	;; [unrolled: 1-line block ×5, first 2 shown]
	v_add_co_u32 v4, s0, s1, v4
	s_delay_alu instid0(VALU_DEP_1) | instskip(SKIP_1) | instid1(VALU_DEP_2)
	v_add_co_ci_u32_e64 v5, s0, s4, v5, s0
	s_mov_b32 s11, 0xbfe2cf23
	v_add_co_u32 v23, s0, 0x1000, v4
	s_clause 0x1
	global_load_b128 v[6:9], v[4:5], off offset:2000
	global_load_b128 v[11:14], v[4:5], off offset:4000
	ds_store_b128 v224, v[0:3]
	ds_load_b128 v[0:3], v224 offset:2000
	ds_load_b128 v[15:18], v10 offset:58000
	v_add_co_ci_u32_e64 v24, s0, 0, v5, s0
	s_mov_b32 s16, 0x372fe950
	s_mov_b32 s17, 0x3fd3c6ef
	;; [unrolled: 1-line block ×3, first 2 shown]
	global_load_b128 v[19:22], v[23:24], off offset:1904
	s_mov_b32 s19, 0x3fe9e377
	s_waitcnt lgkmcnt(0)
	v_add_f64 v[25:26], v[0:1], v[15:16]
	v_add_f64 v[27:28], v[17:18], v[2:3]
	v_add_f64 v[29:30], v[0:1], -v[15:16]
	v_add_f64 v[0:1], v[2:3], -v[17:18]
	s_waitcnt vmcnt(2)
	s_delay_alu instid0(VALU_DEP_2) | instskip(NEXT) | instid1(VALU_DEP_2)
	v_fma_f64 v[2:3], v[29:30], v[8:9], v[25:26]
	v_fma_f64 v[15:16], v[27:28], v[8:9], v[0:1]
	v_fma_f64 v[17:18], -v[29:30], v[8:9], v[25:26]
	v_fma_f64 v[8:9], v[27:28], v[8:9], -v[0:1]
	s_delay_alu instid0(VALU_DEP_4) | instskip(NEXT) | instid1(VALU_DEP_4)
	v_fma_f64 v[0:1], -v[27:28], v[6:7], v[2:3]
	v_fma_f64 v[2:3], v[29:30], v[6:7], v[15:16]
	s_delay_alu instid0(VALU_DEP_4) | instskip(NEXT) | instid1(VALU_DEP_4)
	v_fma_f64 v[15:16], v[27:28], v[6:7], v[17:18]
	v_fma_f64 v[17:18], v[29:30], v[6:7], v[8:9]
	ds_store_b128 v224, v[0:3] offset:2000
	ds_store_b128 v10, v[15:18] offset:58000
	ds_load_b128 v[0:3], v224 offset:4000
	ds_load_b128 v[6:9], v10 offset:56000
	global_load_b128 v[15:18], v[23:24], off offset:3904
	s_waitcnt lgkmcnt(0)
	v_add_f64 v[23:24], v[0:1], v[6:7]
	v_add_f64 v[25:26], v[8:9], v[2:3]
	v_add_f64 v[27:28], v[0:1], -v[6:7]
	v_add_f64 v[0:1], v[2:3], -v[8:9]
	s_waitcnt vmcnt(2)
	s_delay_alu instid0(VALU_DEP_2) | instskip(NEXT) | instid1(VALU_DEP_2)
	v_fma_f64 v[2:3], v[27:28], v[13:14], v[23:24]
	v_fma_f64 v[6:7], v[25:26], v[13:14], v[0:1]
	v_fma_f64 v[8:9], -v[27:28], v[13:14], v[23:24]
	v_fma_f64 v[13:14], v[25:26], v[13:14], -v[0:1]
	v_add_co_u32 v23, s0, 0x2000, v4
	s_delay_alu instid0(VALU_DEP_1)
	v_add_co_ci_u32_e64 v24, s0, 0, v5, s0
	v_fma_f64 v[0:1], -v[25:26], v[11:12], v[2:3]
	v_fma_f64 v[2:3], v[27:28], v[11:12], v[6:7]
	v_fma_f64 v[6:7], v[25:26], v[11:12], v[8:9]
	v_fma_f64 v[8:9], v[27:28], v[11:12], v[13:14]
	ds_store_b128 v224, v[0:3] offset:4000
	ds_store_b128 v10, v[6:9] offset:56000
	ds_load_b128 v[0:3], v224 offset:6000
	ds_load_b128 v[6:9], v10 offset:54000
	global_load_b128 v[11:14], v[23:24], off offset:1808
	s_waitcnt lgkmcnt(0)
	v_add_f64 v[25:26], v[0:1], v[6:7]
	v_add_f64 v[27:28], v[8:9], v[2:3]
	v_add_f64 v[29:30], v[0:1], -v[6:7]
	v_add_f64 v[0:1], v[2:3], -v[8:9]
	s_waitcnt vmcnt(2)
	s_delay_alu instid0(VALU_DEP_2) | instskip(NEXT) | instid1(VALU_DEP_2)
	v_fma_f64 v[2:3], v[29:30], v[21:22], v[25:26]
	v_fma_f64 v[6:7], v[27:28], v[21:22], v[0:1]
	v_fma_f64 v[8:9], -v[29:30], v[21:22], v[25:26]
	v_fma_f64 v[21:22], v[27:28], v[21:22], -v[0:1]
	s_delay_alu instid0(VALU_DEP_4) | instskip(NEXT) | instid1(VALU_DEP_4)
	v_fma_f64 v[0:1], -v[27:28], v[19:20], v[2:3]
	v_fma_f64 v[2:3], v[29:30], v[19:20], v[6:7]
	s_delay_alu instid0(VALU_DEP_4) | instskip(NEXT) | instid1(VALU_DEP_4)
	v_fma_f64 v[6:7], v[27:28], v[19:20], v[8:9]
	v_fma_f64 v[8:9], v[29:30], v[19:20], v[21:22]
	ds_store_b128 v224, v[0:3] offset:6000
	ds_store_b128 v10, v[6:9] offset:54000
	ds_load_b128 v[0:3], v224 offset:8000
	ds_load_b128 v[6:9], v10 offset:52000
	global_load_b128 v[19:22], v[23:24], off offset:3808
	s_waitcnt lgkmcnt(0)
	v_add_f64 v[23:24], v[0:1], v[6:7]
	v_add_f64 v[25:26], v[8:9], v[2:3]
	v_add_f64 v[27:28], v[0:1], -v[6:7]
	v_add_f64 v[0:1], v[2:3], -v[8:9]
	s_waitcnt vmcnt(2)
	s_delay_alu instid0(VALU_DEP_2) | instskip(NEXT) | instid1(VALU_DEP_2)
	v_fma_f64 v[2:3], v[27:28], v[17:18], v[23:24]
	v_fma_f64 v[6:7], v[25:26], v[17:18], v[0:1]
	v_fma_f64 v[8:9], -v[27:28], v[17:18], v[23:24]
	v_fma_f64 v[17:18], v[25:26], v[17:18], -v[0:1]
	v_add_co_u32 v23, s0, 0x3000, v4
	s_delay_alu instid0(VALU_DEP_1)
	v_add_co_ci_u32_e64 v24, s0, 0, v5, s0
	v_fma_f64 v[0:1], -v[25:26], v[15:16], v[2:3]
	v_fma_f64 v[2:3], v[27:28], v[15:16], v[6:7]
	v_fma_f64 v[6:7], v[25:26], v[15:16], v[8:9]
	v_fma_f64 v[8:9], v[27:28], v[15:16], v[17:18]
	ds_store_b128 v224, v[0:3] offset:8000
	ds_store_b128 v10, v[6:9] offset:52000
	ds_load_b128 v[0:3], v224 offset:10000
	ds_load_b128 v[6:9], v10 offset:50000
	global_load_b128 v[15:18], v[23:24], off offset:1712
	;; [unrolled: 45-line block ×4, first 2 shown]
	s_waitcnt lgkmcnt(0)
	v_add_f64 v[25:26], v[0:1], v[6:7]
	v_add_f64 v[27:28], v[8:9], v[2:3]
	v_add_f64 v[29:30], v[0:1], -v[6:7]
	v_add_f64 v[0:1], v[2:3], -v[8:9]
	s_waitcnt vmcnt(2)
	s_delay_alu instid0(VALU_DEP_2) | instskip(NEXT) | instid1(VALU_DEP_2)
	v_fma_f64 v[2:3], v[29:30], v[21:22], v[25:26]
	v_fma_f64 v[6:7], v[27:28], v[21:22], v[0:1]
	v_fma_f64 v[8:9], -v[29:30], v[21:22], v[25:26]
	v_fma_f64 v[21:22], v[27:28], v[21:22], -v[0:1]
	s_delay_alu instid0(VALU_DEP_4) | instskip(NEXT) | instid1(VALU_DEP_4)
	v_fma_f64 v[0:1], -v[27:28], v[19:20], v[2:3]
	v_fma_f64 v[2:3], v[29:30], v[19:20], v[6:7]
	s_delay_alu instid0(VALU_DEP_4) | instskip(NEXT) | instid1(VALU_DEP_4)
	v_fma_f64 v[6:7], v[27:28], v[19:20], v[8:9]
	v_fma_f64 v[8:9], v[29:30], v[19:20], v[21:22]
	ds_store_b128 v224, v[0:3] offset:18000
	ds_store_b128 v10, v[6:9] offset:42000
	ds_load_b128 v[0:3], v224 offset:20000
	ds_load_b128 v[6:9], v10 offset:40000
	global_load_b128 v[19:22], v[23:24], off offset:3520
	s_waitcnt lgkmcnt(0)
	v_add_f64 v[23:24], v[0:1], v[6:7]
	v_add_f64 v[25:26], v[8:9], v[2:3]
	v_add_f64 v[27:28], v[0:1], -v[6:7]
	v_add_f64 v[0:1], v[2:3], -v[8:9]
	s_waitcnt vmcnt(2)
	s_delay_alu instid0(VALU_DEP_2) | instskip(NEXT) | instid1(VALU_DEP_2)
	v_fma_f64 v[2:3], v[27:28], v[17:18], v[23:24]
	v_fma_f64 v[6:7], v[25:26], v[17:18], v[0:1]
	v_fma_f64 v[8:9], -v[27:28], v[17:18], v[23:24]
	v_fma_f64 v[17:18], v[25:26], v[17:18], -v[0:1]
	v_add_co_u32 v23, s0, 0x6000, v4
	s_delay_alu instid0(VALU_DEP_1)
	v_add_co_ci_u32_e64 v24, s0, 0, v5, s0
	s_mov_b32 s0, 0xe8584caa
	s_mov_b32 s1, 0x3febb67a
	;; [unrolled: 1-line block ×3, first 2 shown]
	v_fma_f64 v[0:1], -v[25:26], v[15:16], v[2:3]
	v_fma_f64 v[2:3], v[27:28], v[15:16], v[6:7]
	v_fma_f64 v[6:7], v[25:26], v[15:16], v[8:9]
	v_fma_f64 v[8:9], v[27:28], v[15:16], v[17:18]
	ds_store_b128 v224, v[0:3] offset:20000
	ds_store_b128 v10, v[6:9] offset:40000
	ds_load_b128 v[0:3], v224 offset:22000
	ds_load_b128 v[6:9], v10 offset:38000
	global_load_b128 v[15:18], v[23:24], off offset:1424
	s_waitcnt lgkmcnt(0)
	v_add_f64 v[4:5], v[0:1], v[6:7]
	v_add_f64 v[25:26], v[8:9], v[2:3]
	v_add_f64 v[6:7], v[0:1], -v[6:7]
	v_add_f64 v[0:1], v[2:3], -v[8:9]
	s_waitcnt vmcnt(2)
	s_delay_alu instid0(VALU_DEP_2) | instskip(NEXT) | instid1(VALU_DEP_2)
	v_fma_f64 v[2:3], v[6:7], v[13:14], v[4:5]
	v_fma_f64 v[8:9], v[25:26], v[13:14], v[0:1]
	v_fma_f64 v[4:5], -v[6:7], v[13:14], v[4:5]
	v_fma_f64 v[13:14], v[25:26], v[13:14], -v[0:1]
	s_delay_alu instid0(VALU_DEP_4) | instskip(NEXT) | instid1(VALU_DEP_4)
	v_fma_f64 v[0:1], -v[25:26], v[11:12], v[2:3]
	v_fma_f64 v[2:3], v[6:7], v[11:12], v[8:9]
	s_delay_alu instid0(VALU_DEP_4) | instskip(NEXT) | instid1(VALU_DEP_4)
	v_fma_f64 v[4:5], v[25:26], v[11:12], v[4:5]
	v_fma_f64 v[6:7], v[6:7], v[11:12], v[13:14]
	ds_store_b128 v224, v[0:3] offset:22000
	ds_store_b128 v10, v[4:7] offset:38000
	ds_load_b128 v[0:3], v224 offset:24000
	ds_load_b128 v[4:7], v10 offset:36000
	global_load_b128 v[11:14], v[23:24], off offset:3424
	s_waitcnt lgkmcnt(0)
	v_add_f64 v[8:9], v[0:1], v[4:5]
	v_add_f64 v[23:24], v[6:7], v[2:3]
	v_add_f64 v[25:26], v[0:1], -v[4:5]
	v_add_f64 v[0:1], v[2:3], -v[6:7]
	s_waitcnt vmcnt(2)
	s_delay_alu instid0(VALU_DEP_2) | instskip(NEXT) | instid1(VALU_DEP_2)
	v_fma_f64 v[2:3], v[25:26], v[21:22], v[8:9]
	v_fma_f64 v[4:5], v[23:24], v[21:22], v[0:1]
	v_fma_f64 v[6:7], -v[25:26], v[21:22], v[8:9]
	v_fma_f64 v[8:9], v[23:24], v[21:22], -v[0:1]
	s_delay_alu instid0(VALU_DEP_4) | instskip(NEXT) | instid1(VALU_DEP_4)
	v_fma_f64 v[0:1], -v[23:24], v[19:20], v[2:3]
	v_fma_f64 v[2:3], v[25:26], v[19:20], v[4:5]
	s_delay_alu instid0(VALU_DEP_4) | instskip(NEXT) | instid1(VALU_DEP_4)
	v_fma_f64 v[4:5], v[23:24], v[19:20], v[6:7]
	v_fma_f64 v[6:7], v[25:26], v[19:20], v[8:9]
	ds_store_b128 v224, v[0:3] offset:24000
	ds_store_b128 v10, v[4:7] offset:36000
	ds_load_b128 v[0:3], v224 offset:26000
	ds_load_b128 v[4:7], v10 offset:34000
	s_waitcnt lgkmcnt(0)
	v_add_f64 v[8:9], v[0:1], v[4:5]
	v_add_f64 v[19:20], v[6:7], v[2:3]
	v_add_f64 v[21:22], v[0:1], -v[4:5]
	v_add_f64 v[0:1], v[2:3], -v[6:7]
	s_waitcnt vmcnt(1)
	s_delay_alu instid0(VALU_DEP_2) | instskip(NEXT) | instid1(VALU_DEP_2)
	v_fma_f64 v[2:3], v[21:22], v[17:18], v[8:9]
	v_fma_f64 v[4:5], v[19:20], v[17:18], v[0:1]
	v_fma_f64 v[6:7], -v[21:22], v[17:18], v[8:9]
	v_fma_f64 v[8:9], v[19:20], v[17:18], -v[0:1]
	s_delay_alu instid0(VALU_DEP_4) | instskip(NEXT) | instid1(VALU_DEP_4)
	v_fma_f64 v[0:1], -v[19:20], v[15:16], v[2:3]
	v_fma_f64 v[2:3], v[21:22], v[15:16], v[4:5]
	s_delay_alu instid0(VALU_DEP_4) | instskip(NEXT) | instid1(VALU_DEP_4)
	v_fma_f64 v[4:5], v[19:20], v[15:16], v[6:7]
	v_fma_f64 v[6:7], v[21:22], v[15:16], v[8:9]
	ds_store_b128 v224, v[0:3] offset:26000
	ds_store_b128 v10, v[4:7] offset:34000
	ds_load_b128 v[0:3], v224 offset:28000
	ds_load_b128 v[4:7], v10 offset:32000
	s_waitcnt lgkmcnt(0)
	v_add_f64 v[8:9], v[0:1], v[4:5]
	v_add_f64 v[15:16], v[6:7], v[2:3]
	v_add_f64 v[17:18], v[0:1], -v[4:5]
	v_add_f64 v[0:1], v[2:3], -v[6:7]
	s_waitcnt vmcnt(0)
	s_delay_alu instid0(VALU_DEP_2) | instskip(NEXT) | instid1(VALU_DEP_2)
	v_fma_f64 v[2:3], v[17:18], v[13:14], v[8:9]
	v_fma_f64 v[4:5], v[15:16], v[13:14], v[0:1]
	v_fma_f64 v[6:7], -v[17:18], v[13:14], v[8:9]
	v_fma_f64 v[8:9], v[15:16], v[13:14], -v[0:1]
	s_delay_alu instid0(VALU_DEP_4) | instskip(NEXT) | instid1(VALU_DEP_4)
	v_fma_f64 v[0:1], -v[15:16], v[11:12], v[2:3]
	v_fma_f64 v[2:3], v[17:18], v[11:12], v[4:5]
	s_delay_alu instid0(VALU_DEP_4) | instskip(NEXT) | instid1(VALU_DEP_4)
	v_fma_f64 v[4:5], v[15:16], v[11:12], v[6:7]
	v_fma_f64 v[6:7], v[17:18], v[11:12], v[8:9]
	v_add_nc_u32_e32 v11, 0x7d, v145
	s_delay_alu instid0(VALU_DEP_1) | instskip(SKIP_1) | instid1(VALU_DEP_1)
	v_dual_mov_b32 v108, v11 :: v_dual_add_nc_u32 v109, 0xfa, v145
	v_and_b32_e32 v12, 0xff, v11
	v_dual_mov_b32 v229, v12 :: v_dual_and_b32 v112, 0xff, v145
	s_delay_alu instid0(VALU_DEP_1)
	v_mul_lo_u16 v8, 0xab, v112
	scratch_store_b32 off, v108, off offset:28 ; 4-byte Folded Spill
	v_mul_lo_u16 v144, 0xab, v12
	scratch_store_b32 off, v229, off offset:36 ; 4-byte Folded Spill
	v_lshrrev_b16 v113, 9, v8
	ds_store_b128 v224, v[0:3] offset:28000
	ds_store_b128 v10, v[4:7] offset:32000
	v_mul_lo_u16 v9, v113, 3
	s_waitcnt lgkmcnt(0)
	s_waitcnt_vscnt null, 0x0
	s_barrier
	buffer_gl0_inv
	v_sub_nc_u16 v9, v145, v9
	s_barrier
	buffer_gl0_inv
	v_mad_u32_u24 v8, v145, 48, 0
	v_and_b32_e32 v116, 0xff, v9
	ds_load_b128 v[0:3], v224 offset:2000
	ds_load_b128 v[4:7], v224 offset:4000
	ds_load_b128 v[9:12], v224 offset:22000
	ds_load_b128 v[13:16], v224 offset:24000
	ds_load_b128 v[17:20], v224 offset:20000
	ds_load_b128 v[21:24], v224 offset:18000
	ds_load_b128 v[25:28], v224
	ds_load_b128 v[29:32], v224 offset:58000
	ds_load_b128 v[33:36], v224 offset:42000
	;; [unrolled: 1-line block ×23, first 2 shown]
	s_waitcnt lgkmcnt(23)
	v_add_f64 v[101:102], v[25:26], v[17:18]
	v_add_f64 v[105:106], v[27:28], v[19:20]
	s_waitcnt lgkmcnt(21)
	v_add_f64 v[160:161], v[11:12], v[35:36]
	s_waitcnt lgkmcnt(17)
	;; [unrolled: 2-line block ×3, first 2 shown]
	v_add_f64 v[148:149], v[17:18], v[57:58]
	v_add_f64 v[150:151], v[19:20], -v[59:60]
	v_add_f64 v[19:20], v[19:20], v[59:60]
	v_add_f64 v[152:153], v[17:18], -v[57:58]
	v_add_f64 v[17:18], v[9:10], v[33:34]
	v_add_f64 v[164:165], v[13:14], v[37:38]
	;; [unrolled: 1-line block ×4, first 2 shown]
	s_waitcnt lgkmcnt(13)
	v_add_f64 v[172:173], v[49:50], v[65:66]
	v_add_f64 v[174:175], v[51:52], -v[67:68]
	v_add_f64 v[51:52], v[51:52], v[67:68]
	v_add_f64 v[176:177], v[49:50], -v[65:66]
	v_add_f64 v[49:50], v[45:46], v[53:54]
	v_add_f64 v[178:179], v[47:48], v[55:56]
	s_waitcnt lgkmcnt(12)
	v_add_f64 v[180:181], v[53:54], v[69:70]
	v_add_f64 v[182:183], v[55:56], -v[71:72]
	v_add_f64 v[55:56], v[55:56], v[71:72]
	v_add_f64 v[184:185], v[53:54], -v[69:70]
	s_waitcnt lgkmcnt(9)
	v_add_f64 v[53:54], v[73:74], v[81:82]
	v_add_f64 v[110:111], v[0:1], v[9:10]
	;; [unrolled: 1-line block ×3, first 2 shown]
	s_waitcnt lgkmcnt(8)
	v_add_f64 v[192:193], v[77:78], v[85:86]
	s_waitcnt lgkmcnt(1)
	v_add_f64 v[204:205], v[121:122], v[129:130]
	v_add_f64 v[206:207], v[123:124], v[131:132]
	s_waitcnt lgkmcnt(0)
	v_add_f64 v[212:213], v[125:126], v[133:134]
	v_add_f64 v[214:215], v[127:128], v[135:136]
	;; [unrolled: 1-line block ×3, first 2 shown]
	v_add_f64 v[190:191], v[83:84], -v[91:92]
	v_add_f64 v[83:84], v[83:84], v[91:92]
	v_add_f64 v[194:195], v[79:80], v[87:88]
	v_add_f64 v[196:197], v[85:86], v[93:94]
	v_add_f64 v[198:199], v[87:88], -v[95:96]
	v_add_f64 v[87:88], v[87:88], v[95:96]
	v_add_f64 v[202:203], v[99:100], v[123:124]
	v_add_f64 v[220:221], v[61:62], v[29:30]
	v_add_f64 v[208:209], v[117:118], v[125:126]
	v_add_f64 v[222:223], v[63:64], v[31:32]
	v_add_f64 v[114:115], v[2:3], v[11:12]
	v_add_f64 v[158:159], v[11:12], -v[35:36]
	v_add_f64 v[162:163], v[9:10], -v[33:34]
	v_add_f64 v[9:10], v[101:102], v[57:58]
	v_add_f64 v[11:12], v[105:106], v[59:60]
	v_fma_f64 v[57:58], v[148:149], -0.5, v[25:26]
	v_fma_f64 v[59:60], v[19:20], -0.5, v[27:28]
	v_add_f64 v[200:201], v[97:98], v[121:122]
	v_add_f64 v[216:217], v[21:22], v[61:62]
	;; [unrolled: 1-line block ×5, first 2 shown]
	v_add_f64 v[225:226], v[63:64], -v[31:32]
	v_add_f64 v[227:228], v[61:62], -v[29:30]
	v_fma_f64 v[61:62], v[17:18], -0.5, v[0:1]
	v_fma_f64 v[63:64], v[160:161], -0.5, v[2:3]
	v_add_f64 v[166:167], v[15:16], -v[39:40]
	v_add_f64 v[170:171], v[13:14], -v[37:38]
	v_fma_f64 v[101:102], v[164:165], -0.5, v[4:5]
	v_add_f64 v[4:5], v[154:155], v[65:66]
	v_fma_f64 v[65:66], v[168:169], -0.5, v[6:7]
	v_add_f64 v[6:7], v[156:157], v[67:68]
	;; [unrolled: 2-line block ×3, first 2 shown]
	v_fma_f64 v[69:70], v[51:52], -0.5, v[43:44]
	v_add_f64 v[81:82], v[81:82], -v[89:90]
	v_add_f64 v[19:20], v[178:179], v[71:72]
	v_fma_f64 v[71:72], v[180:181], -0.5, v[45:46]
	v_add_f64 v[25:26], v[53:54], v[89:90]
	v_fma_f64 v[89:90], v[55:56], -0.5, v[47:48]
	v_add_f64 v[85:86], v[85:86], -v[93:94]
	v_add_f64 v[123:124], v[123:124], -v[131:132]
	;; [unrolled: 1-line block ×3, first 2 shown]
	v_add_f64 v[13:14], v[110:111], v[33:34]
	v_add_f64 v[27:28], v[186:187], v[91:92]
	;; [unrolled: 1-line block ×3, first 2 shown]
	v_fma_f64 v[91:92], v[204:205], -0.5, v[97:98]
	v_fma_f64 v[93:94], v[206:207], -0.5, v[99:100]
	v_add_f64 v[210:211], v[119:120], v[127:128]
	v_add_f64 v[127:128], v[127:128], -v[135:136]
	v_fma_f64 v[97:98], v[212:213], -0.5, v[117:118]
	v_add_f64 v[125:126], v[125:126], -v[133:134]
	v_fma_f64 v[105:106], v[214:215], -0.5, v[119:120]
	v_fma_f64 v[73:74], v[188:189], -0.5, v[73:74]
	;; [unrolled: 1-line block ×5, first 2 shown]
	v_add_f64 v[99:100], v[202:203], v[131:132]
	v_fma_f64 v[131:132], v[220:221], -0.5, v[21:22]
	v_add_f64 v[110:111], v[208:209], v[133:134]
	v_fma_f64 v[133:134], v[222:223], -0.5, v[23:24]
	v_fma_f64 v[21:22], v[150:151], s[0:1], v[57:58]
	v_fma_f64 v[23:24], v[152:153], s[4:5], v[59:60]
	v_add_f64 v[15:16], v[114:115], v[35:36]
	v_add_f64 v[35:36], v[194:195], v[95:96]
	;; [unrolled: 1-line block ×5, first 2 shown]
	v_fma_f64 v[29:30], v[150:151], s[4:5], v[57:58]
	v_fma_f64 v[31:32], v[152:153], s[0:1], v[59:60]
	v_add_f64 v[0:1], v[137:138], v[37:38]
	v_add_f64 v[2:3], v[146:147], v[39:40]
	v_fma_f64 v[37:38], v[158:159], s[0:1], v[61:62]
	v_fma_f64 v[39:40], v[162:163], s[4:5], v[63:64]
	;; [unrolled: 1-line block ×20, first 2 shown]
	v_add_f64 v[114:115], v[210:211], v[135:136]
	v_fma_f64 v[120:121], v[127:128], s[0:1], v[97:98]
	v_fma_f64 v[97:98], v[127:128], s[4:5], v[97:98]
	;; [unrolled: 1-line block ×16, first 2 shown]
	v_lshrrev_b16 v117, 9, v144
	v_add_nc_u32_e32 v103, 0x7538, v8
	v_add_nc_u32_e32 v104, 0x7548, v8
	;; [unrolled: 1-line block ×6, first 2 shown]
	s_barrier
	buffer_gl0_inv
	ds_store_b128 v8, v[9:12]
	ds_store_b128 v8, v[21:24] offset:16
	ds_store_b128 v8, v[29:32] offset:32
	;; [unrolled: 1-line block ×14, first 2 shown]
	ds_store_b64 v8, v[95:96] offset:30000
	ds_store_2addr_b64 v104, v[101:102], v[89:90] offset1:1
	ds_store_2addr_b64 v103, v[99:100], v[91:92] offset1:1
	ds_store_b64 v8, v[93:94] offset:30040
	ds_store_b64 v8, v[110:111] offset:36000
	ds_store_2addr_b64 v107, v[114:115], v[120:121] offset1:1
	ds_store_2addr_b64 v139, v[122:123], v[97:98] offset1:1
	ds_store_b64 v8, v[105:106] offset:36040
	ds_store_b128 v8, v[25:28] offset:42000
	ds_store_b128 v8, v[69:72] offset:42016
	;; [unrolled: 1-line block ×6, first 2 shown]
	ds_store_b64 v8, v[118:119] offset:54000
	ds_store_2addr_b64 v140, v[129:130], v[85:86] offset1:1
	ds_store_2addr_b64 v141, v[124:125], v[87:88] offset1:1
	ds_store_b64 v8, v[126:127] offset:54040
	v_mul_lo_u16 v8, v117, 3
	v_and_b32_e32 v9, 0xffff, v109
	v_add_nc_u32_e32 v14, 0x177, v145
	v_add_nc_u32_e32 v18, 0x1f4, v145
	s_waitcnt lgkmcnt(0)
	v_sub_nc_u16 v12, v108, v8
	v_mul_u32_u24_e32 v13, 0xaaab, v9
	v_and_b32_e32 v16, 0xffff, v14
	s_barrier
	buffer_gl0_inv
	v_and_b32_e32 v118, 0xff, v12
	v_mov_b32_e32 v30, v14
	v_lshrrev_b32_e32 v119, 17, v13
	v_dual_mov_b32 v29, v18 :: v_dual_and_b32 v26, 0xffff, v18
	s_clause 0x3
	scratch_store_b32 off, v9, off offset:32
	scratch_store_b32 off, v109, off offset:52
	;; [unrolled: 1-line block ×4, first 2 shown]
	v_mul_u32_u24_e32 v16, 0xaaab, v16
	v_lshlrev_b32_e32 v128, 6, v116
	v_lshlrev_b32_e32 v24, 6, v118
	v_mul_lo_u16 v17, v119, 3
	v_add_nc_u32_e32 v28, 0x271, v145
	v_lshrrev_b32_e32 v126, 17, v16
	s_clause 0x5
	global_load_b128 v[0:3], v128, s[8:9]
	global_load_b128 v[80:83], v24, s[8:9] offset:32
	global_load_b128 v[4:7], v128, s[8:9] offset:16
	global_load_b128 v[8:11], v128, s[8:9] offset:32
	global_load_b128 v[12:15], v128, s[8:9] offset:48
	global_load_b128 v[20:23], v24, s[8:9]
	v_sub_nc_u16 v25, v109, v17
	global_load_b128 v[16:19], v24, s[8:9] offset:16
	v_mul_lo_u16 v27, v126, 3
	v_mul_u32_u24_e32 v26, 0xaaab, v26
	v_and_b32_e32 v31, 0xffff, v28
	v_and_b32_e32 v120, 0xffff, v25
	s_clause 0x1
	scratch_store_b32 off, v30, off offset:24
	scratch_store_b32 off, v29, off offset:20
	v_sub_nc_u16 v25, v30, v27
	v_lshrrev_b32_e32 v122, 17, v26
	s_clause 0x1
	scratch_store_b32 off, v31, off offset:40
	scratch_store_b32 off, v28, off offset:16
	global_load_b128 v[72:75], v24, s[8:9] offset:48
	v_lshlrev_b32_e32 v26, 6, v120
	v_and_b32_e32 v121, 0xffff, v25
	v_mul_lo_u16 v27, v122, 3
	v_mul_lo_u16 v104, 0x89, v112
	v_and_b32_e32 v105, 0xffff, v113
	s_clause 0x1
	global_load_b128 v[68:71], v26, s[8:9]
	global_load_b128 v[64:67], v26, s[8:9] offset:16
	v_lshlrev_b32_e32 v25, 6, v121
	s_clause 0x1
	global_load_b128 v[60:63], v26, s[8:9] offset:32
	global_load_b128 v[32:35], v26, s[8:9] offset:48
	v_lshrrev_b16 v106, 11, v104
	v_mul_lo_u16 v104, 0x89, v229
	global_load_b128 v[56:59], v25, s[8:9]
	v_mul_u32_u24_e32 v24, 0xaaab, v31
	s_clause 0x1
	global_load_b128 v[52:55], v25, s[8:9] offset:16
	global_load_b128 v[48:51], v25, s[8:9] offset:32
	v_mul_lo_u16 v114, v106, 15
	v_lshrrev_b16 v255, 11, v104
	v_lshrrev_b32_e32 v123, 17, v24
	v_sub_nc_u16 v24, v29, v27
	v_mul_u32_u24_e32 v140, 0xf0, v105
	v_sub_nc_u16 v104, v145, v114
	v_lshlrev_b32_e32 v108, 4, v120
	v_mul_lo_u16 v26, v123, 3
	v_and_b32_e32 v124, 0xffff, v24
	v_lshlrev_b32_e32 v109, 4, v121
	v_lshlrev_b32_e32 v107, 4, v118
	s_mov_b32 s4, 0x4755a5e
	v_sub_nc_u16 v24, v28, v26
	v_lshlrev_b32_e32 v26, 6, v124
	s_clause 0x1
	global_load_b128 v[44:47], v25, s[8:9] offset:48
	global_load_b128 v[40:43], v26, s[8:9]
	v_and_b32_e32 v125, 0xffff, v24
	s_clause 0x1
	global_load_b128 v[36:39], v26, s[8:9] offset:16
	global_load_b128 v[28:31], v26, s[8:9] offset:32
	v_lshlrev_b32_e32 v110, 4, v124
	s_mov_b32 s5, 0x3fe2cf23
	s_mov_b32 s10, s4
	v_lshlrev_b32_e32 v92, 6, v125
	s_clause 0x4
	global_load_b128 v[24:27], v26, s[8:9] offset:48
	global_load_b128 v[76:79], v92, s[8:9]
	global_load_b128 v[84:87], v92, s[8:9] offset:16
	global_load_b128 v[88:91], v92, s[8:9] offset:32
	;; [unrolled: 1-line block ×3, first 2 shown]
	ds_load_b128 v[96:99], v224 offset:12000
	ds_load_b128 v[127:130], v224 offset:36000
	;; [unrolled: 1-line block ×3, first 2 shown]
	scratch_store_b32 off, v106, off offset:56 ; 4-byte Folded Spill
	ds_load_b128 v[131:134], v224 offset:48000
	ds_load_b128 v[135:138], v224 offset:10000
	;; [unrolled: 1-line block ×21, first 2 shown]
	v_and_b32_e32 v106, 0xff, v104
	v_lshlrev_b32_e32 v111, 4, v125
	v_mul_u32_u24_e32 v113, 0xf0, v122
	v_mul_u32_u24_e32 v139, 0xf0, v123
	s_waitcnt vmcnt(23) lgkmcnt(23)
	v_mul_f64 v[222:223], v[98:99], v[2:3]
	v_mul_f64 v[2:3], v[96:97], v[2:3]
	s_waitcnt vmcnt(21) lgkmcnt(21)
	v_mul_f64 v[229:230], v[102:103], v[6:7]
	v_mul_f64 v[6:7], v[100:101], v[6:7]
	s_waitcnt vmcnt(20)
	v_mul_f64 v[231:232], v[129:130], v[10:11]
	s_waitcnt vmcnt(19) lgkmcnt(20)
	v_mul_f64 v[233:234], v[133:134], v[14:15]
	s_waitcnt vmcnt(18) lgkmcnt(18)
	v_mul_f64 v[235:236], v[148:149], v[22:23]
	v_mul_f64 v[22:23], v[146:147], v[22:23]
	;; [unrolled: 1-line block ×4, first 2 shown]
	s_waitcnt vmcnt(17) lgkmcnt(16)
	v_mul_f64 v[237:238], v[156:157], v[18:19]
	s_waitcnt lgkmcnt(13)
	v_mul_f64 v[239:240], v[168:169], v[82:83]
	v_mul_f64 v[82:83], v[166:167], v[82:83]
	;; [unrolled: 1-line block ×3, first 2 shown]
	s_waitcnt vmcnt(10) lgkmcnt(5)
	v_mul_f64 v[241:242], v[200:201], v[54:55]
	v_mul_f64 v[54:55], v[198:199], v[54:55]
	v_fma_f64 v[96:97], v[96:97], v[0:1], -v[222:223]
	v_fma_f64 v[222:223], v[98:99], v[0:1], v[2:3]
	v_mul_f64 v[98:99], v[184:185], v[74:75]
	v_fma_f64 v[100:101], v[100:101], v[4:5], -v[229:230]
	v_fma_f64 v[102:103], v[102:103], v[4:5], v[6:7]
	v_mul_f64 v[4:5], v[172:173], v[70:71]
	v_mul_f64 v[6:7], v[170:171], v[70:71]
	v_mul_f64 v[70:71], v[176:177], v[66:67]
	v_mul_f64 v[66:67], v[174:175], v[66:67]
	v_fma_f64 v[127:128], v[127:128], v[8:9], -v[231:232]
	v_mul_f64 v[229:230], v[180:181], v[62:63]
	v_mul_f64 v[62:63], v[178:179], v[62:63]
	;; [unrolled: 1-line block ×4, first 2 shown]
	v_fma_f64 v[131:132], v[131:132], v[12:13], -v[233:234]
	v_mul_f64 v[233:234], v[192:193], v[58:59]
	v_mul_f64 v[58:59], v[190:191], v[58:59]
	v_fma_f64 v[146:147], v[146:147], v[20:21], -v[235:236]
	v_fma_f64 v[20:21], v[148:149], v[20:21], v[22:23]
	s_waitcnt vmcnt(9) lgkmcnt(3)
	v_mul_f64 v[22:23], v[208:209], v[50:51]
	v_mul_f64 v[50:51], v[206:207], v[50:51]
	s_waitcnt vmcnt(8) lgkmcnt(1)
	v_mul_f64 v[148:149], v[216:217], v[46:47]
	v_mul_f64 v[74:75], v[182:183], v[74:75]
	;; [unrolled: 1-line block ×3, first 2 shown]
	v_fma_f64 v[154:155], v[154:155], v[16:17], -v[237:238]
	s_waitcnt vmcnt(7)
	v_mul_f64 v[235:236], v[196:197], v[42:43]
	v_mul_f64 v[42:43], v[194:195], v[42:43]
	s_waitcnt vmcnt(6)
	v_mul_f64 v[237:238], v[204:205], v[38:39]
	v_mul_f64 v[38:39], v[202:203], v[38:39]
	v_fma_f64 v[166:167], v[166:167], v[80:81], -v[239:240]
	v_fma_f64 v[80:81], v[168:169], v[80:81], v[82:83]
	s_waitcnt vmcnt(5)
	v_mul_f64 v[82:83], v[212:213], v[30:31]
	v_mul_f64 v[30:31], v[210:211], v[30:31]
	s_waitcnt vmcnt(4) lgkmcnt(0)
	v_mul_f64 v[168:169], v[220:221], v[26:27]
	v_mul_f64 v[26:27], v[218:219], v[26:27]
	ds_load_b128 v[0:3], v224 offset:58000
	ds_load_b128 v[225:228], v224
	v_fma_f64 v[129:130], v[129:130], v[8:9], v[10:11]
	v_fma_f64 v[133:134], v[133:134], v[12:13], v[14:15]
	;; [unrolled: 1-line block ×3, first 2 shown]
	scratch_store_b32 off, v106, off offset:60 ; 4-byte Folded Spill
	v_fma_f64 v[182:183], v[182:183], v[72:73], -v[98:99]
	v_and_b32_e32 v99, 0xffff, v117
	v_lshlrev_b32_e32 v106, 6, v106
	v_fma_f64 v[170:171], v[170:171], v[68:69], -v[4:5]
	v_fma_f64 v[68:69], v[172:173], v[68:69], v[6:7]
	v_fma_f64 v[70:71], v[174:175], v[64:65], -v[70:71]
	v_fma_f64 v[64:65], v[176:177], v[64:65], v[66:67]
	s_waitcnt vmcnt(1)
	v_mul_f64 v[172:173], v[164:165], v[90:91]
	v_fma_f64 v[66:67], v[178:179], v[60:61], -v[229:230]
	v_fma_f64 v[60:61], v[180:181], v[60:61], v[62:63]
	v_fma_f64 v[62:63], v[186:187], v[32:33], -v[231:232]
	v_fma_f64 v[32:33], v[188:189], v[32:33], v[34:35]
	v_mul_f64 v[90:91], v[162:163], v[90:91]
	v_fma_f64 v[34:35], v[190:191], v[56:57], -v[233:234]
	v_fma_f64 v[56:57], v[192:193], v[56:57], v[58:59]
	v_fma_f64 v[58:59], v[198:199], v[52:53], -v[241:242]
	s_waitcnt vmcnt(0) lgkmcnt(1)
	v_mul_f64 v[239:240], v[2:3], v[94:95]
	v_fma_f64 v[22:23], v[206:207], v[48:49], -v[22:23]
	v_fma_f64 v[48:49], v[208:209], v[48:49], v[50:51]
	v_fma_f64 v[50:51], v[214:215], v[44:45], -v[148:149]
	v_fma_f64 v[72:73], v[184:185], v[72:73], v[74:75]
	v_mul_f64 v[74:75], v[152:153], v[78:79]
	v_mul_f64 v[78:79], v[150:151], v[78:79]
	v_mul_f64 v[184:185], v[160:161], v[86:87]
	v_mul_f64 v[86:87], v[158:159], v[86:87]
	v_mul_f64 v[94:95], v[0:1], v[94:95]
	v_fma_f64 v[52:53], v[200:201], v[52:53], v[54:55]
	v_fma_f64 v[44:45], v[216:217], v[44:45], v[46:47]
	v_fma_f64 v[46:47], v[194:195], v[40:41], -v[235:236]
	v_fma_f64 v[40:41], v[196:197], v[40:41], v[42:43]
	v_fma_f64 v[42:43], v[202:203], v[36:37], -v[237:238]
	;; [unrolled: 2-line block ×4, first 2 shown]
	v_fma_f64 v[24:25], v[220:221], v[24:25], v[26:27]
	v_add_f64 v[186:187], v[154:155], v[166:167]
	v_mul_u32_u24_e32 v4, 0xf0, v119
	v_add_f64 v[180:181], v[146:147], v[182:183]
	v_add_f64 v[148:149], v[100:101], v[127:128]
	v_add_f64 v[168:169], v[133:134], -v[129:130]
	v_add_f64 v[174:175], v[166:167], -v[182:183]
	scratch_store_b32 off, v4, off offset:64 ; 4-byte Folded Spill
	v_mul_u32_u24_e32 v4, 0xf0, v126
	v_add_f64 v[176:177], v[156:157], -v[20:21]
	v_add_f64 v[188:189], v[156:157], v[80:81]
	v_add_f64 v[198:199], v[70:71], v[66:67]
	v_add_f64 v[194:195], v[146:147], -v[154:155]
	v_add_f64 v[202:203], v[170:171], v[62:63]
	scratch_store_b32 off, v4, off offset:68 ; 4-byte Folded Spill
	ds_load_b128 v[4:7], v224 offset:2000
	ds_load_b128 v[8:11], v224 offset:4000
	;; [unrolled: 1-line block ×4, first 2 shown]
	v_fma_f64 v[82:83], v[164:165], v[88:89], v[90:91]
	v_add_f64 v[90:91], v[129:130], -v[133:134]
	v_add_f64 v[164:165], v[131:132], -v[127:128]
	v_add_f64 v[210:211], v[58:59], v[22:23]
	v_add_f64 v[196:197], v[20:21], -v[156:157]
	v_add_f64 v[214:215], v[34:35], v[50:51]
	v_add_f64 v[178:179], v[80:81], -v[72:73]
	v_fma_f64 v[26:27], v[150:151], v[76:77], -v[74:75]
	v_fma_f64 v[54:55], v[152:153], v[76:77], v[78:79]
	v_fma_f64 v[74:75], v[158:159], v[84:85], -v[184:185]
	v_fma_f64 v[76:77], v[160:161], v[84:85], v[86:87]
	v_fma_f64 v[78:79], v[162:163], v[88:89], -v[172:173]
	v_fma_f64 v[84:85], v[0:1], v[92:93], -v[239:240]
	v_fma_f64 v[86:87], v[2:3], v[92:93], v[94:95]
	v_add_f64 v[0:1], v[100:101], -v[96:97]
	v_add_f64 v[2:3], v[127:128], -v[131:132]
	v_add_f64 v[88:89], v[102:103], -v[222:223]
	v_add_f64 v[92:93], v[96:97], v[131:132]
	v_add_f64 v[94:95], v[222:223], v[133:134]
	;; [unrolled: 1-line block ×3, first 2 shown]
	s_waitcnt lgkmcnt(4)
	v_add_f64 v[152:153], v[225:226], v[96:97]
	v_add_f64 v[160:161], v[96:97], -v[100:101]
	v_add_f64 v[162:163], v[222:223], -v[102:103]
	;; [unrolled: 1-line block ×3, first 2 shown]
	v_add_f64 v[184:185], v[20:21], v[72:73]
	s_waitcnt lgkmcnt(3)
	v_add_f64 v[190:191], v[4:5], v[146:147]
	v_add_f64 v[200:201], v[64:65], v[60:61]
	;; [unrolled: 1-line block ×3, first 2 shown]
	v_add_f64 v[206:207], v[182:183], -v[166:167]
	v_add_f64 v[208:209], v[72:73], -v[80:81]
	v_add_f64 v[212:213], v[52:53], v[48:49]
	v_add_f64 v[216:217], v[56:57], v[44:45]
	v_add_f64 v[218:219], v[170:171], -v[70:71]
	v_add_f64 v[220:221], v[62:63], -v[66:67]
	v_add_f64 v[229:230], v[42:43], v[38:39]
	v_add_f64 v[233:234], v[46:47], v[30:31]
	;; [unrolled: 1-line block ×3, first 2 shown]
	v_add_f64 v[237:238], v[68:69], -v[64:65]
	v_add_f64 v[239:240], v[32:33], -v[60:61]
	s_waitcnt lgkmcnt(2)
	v_add_f64 v[241:242], v[8:9], v[170:171]
	v_fma_f64 v[180:181], v[180:181], -0.5, v[4:5]
	v_fma_f64 v[4:5], v[186:187], -0.5, v[4:5]
	s_waitcnt lgkmcnt(1)
	v_add_f64 v[186:187], v[12:13], v[34:35]
	v_fma_f64 v[198:199], v[198:199], -0.5, v[8:9]
	v_fma_f64 v[8:9], v[202:203], -0.5, v[8:9]
	v_add_f64 v[202:203], v[58:59], -v[34:35]
	v_fma_f64 v[210:211], v[210:211], -0.5, v[12:13]
	v_fma_f64 v[12:13], v[214:215], -0.5, v[12:13]
	v_add_f64 v[214:215], v[22:23], -v[50:51]
	v_add_f64 v[158:159], v[227:228], v[222:223]
	v_add_f64 v[192:193], v[6:7], v[20:21]
	;; [unrolled: 1-line block ×3, first 2 shown]
	v_fma_f64 v[148:149], v[148:149], -0.5, v[225:226]
	v_add_f64 v[104:105], v[0:1], v[2:3]
	v_add_f64 v[0:1], v[46:47], -v[42:43]
	v_fma_f64 v[92:93], v[92:93], -0.5, v[225:226]
	v_fma_f64 v[94:95], v[94:95], -0.5, v[227:228]
	;; [unrolled: 1-line block ×3, first 2 shown]
	v_add_f64 v[225:226], v[56:57], -v[52:53]
	v_add_f64 v[227:228], v[44:45], -v[48:49]
	v_add_f64 v[88:89], v[88:89], v[90:91]
	v_add_f64 v[2:3], v[30:31], -v[38:39]
	v_fma_f64 v[184:185], v[184:185], -0.5, v[6:7]
	v_fma_f64 v[6:7], v[188:189], -0.5, v[6:7]
	v_add_f64 v[188:189], v[14:15], v[56:57]
	v_fma_f64 v[200:201], v[200:201], -0.5, v[10:11]
	v_fma_f64 v[10:11], v[204:205], -0.5, v[10:11]
	v_add_f64 v[204:205], v[52:53], -v[56:57]
	v_fma_f64 v[212:213], v[212:213], -0.5, v[14:15]
	v_fma_f64 v[14:15], v[216:217], -0.5, v[14:15]
	s_waitcnt lgkmcnt(0)
	v_add_f64 v[216:217], v[16:17], v[46:47]
	v_add_f64 v[90:91], v[160:161], v[164:165]
	v_fma_f64 v[229:230], v[229:230], -0.5, v[16:17]
	v_fma_f64 v[16:17], v[233:234], -0.5, v[16:17]
	;; [unrolled: 1-line block ×3, first 2 shown]
	v_add_f64 v[235:236], v[48:49], -v[44:45]
	v_add_f64 v[160:161], v[40:41], -v[36:37]
	v_add_f64 v[162:163], v[162:163], v[168:169]
	v_add_f64 v[164:165], v[24:25], -v[28:29]
	v_add_f64 v[168:169], v[172:173], v[174:175]
	;; [unrolled: 2-line block ×7, first 2 shown]
	v_add_f64 v[237:238], v[84:85], -v[78:79]
	v_lshlrev_b32_e32 v119, 4, v116
	v_add_f64 v[116:117], v[152:153], v[100:101]
	v_mul_u32_u24_e32 v112, 0xf0, v99
	v_add_f64 v[120:121], v[222:223], -v[133:134]
	v_add_f64 v[99:100], v[100:101], -v[127:128]
	v_add_f64 v[222:223], v[74:75], v[78:79]
	v_add_f64 v[202:203], v[202:203], v[214:215]
	;; [unrolled: 1-line block ×4, first 2 shown]
	v_add3_u32 v98, 0, v140, v119
	v_add_f64 v[118:119], v[158:159], v[102:103]
	v_add_f64 v[96:97], v[96:97], -v[131:132]
	v_add_f64 v[124:125], v[54:55], -v[76:77]
	;; [unrolled: 1-line block ×3, first 2 shown]
	v_add_f64 v[225:226], v[225:226], v[227:228]
	v_add_f64 v[227:228], v[76:77], v[82:83]
	v_add_f64 v[239:240], v[0:1], v[2:3]
	v_add_f64 v[0:1], v[135:136], v[26:27]
	v_add_f64 v[216:217], v[216:217], v[42:43]
	v_add_f64 v[42:43], v[42:43], -v[38:39]
	v_add_f64 v[245:246], v[70:71], -v[170:171]
	;; [unrolled: 1-line block ×3, first 2 shown]
	v_add_f64 v[204:205], v[204:205], v[235:236]
	v_add_f64 v[235:236], v[54:55], v[86:87]
	v_add_f64 v[253:254], v[34:35], -v[58:59]
	v_add_f64 v[160:161], v[160:161], v[164:165]
	v_add_f64 v[102:103], v[102:103], -v[129:130]
	v_add_f64 v[2:3], v[137:138], v[54:55]
	v_add_f64 v[190:191], v[190:191], v[154:155]
	v_add_f64 v[170:171], v[170:171], -v[62:63]
	v_add_f64 v[241:242], v[241:242], v[70:71]
	;; [unrolled: 3-line block ×3, first 2 shown]
	v_add_f64 v[194:195], v[76:77], -v[54:55]
	v_add_f64 v[70:71], v[70:71], -v[66:67]
	v_add_f64 v[56:57], v[56:57], -v[44:45]
	v_add_f64 v[206:207], v[218:219], v[237:238]
	v_add_f64 v[218:219], v[78:79], -v[84:85]
	v_add_f64 v[116:117], v[116:117], v[127:128]
	v_add_f64 v[126:127], v[82:83], -v[86:87]
	;; [unrolled: 2-line block ×3, first 2 shown]
	v_fma_f64 v[222:223], v[222:223], -0.5, v[135:136]
	v_add_f64 v[188:189], v[188:189], v[52:53]
	v_fma_f64 v[135:136], v[214:215], -0.5, v[135:136]
	v_fma_f64 v[214:215], v[99:100], s[12:13], v[94:95]
	v_fma_f64 v[94:95], v[99:100], s[14:15], v[94:95]
	v_fma_f64 v[231:232], v[231:232], -0.5, v[18:19]
	v_add_f64 v[18:19], v[18:19], v[40:41]
	v_add_f64 v[34:35], v[34:35], -v[50:51]
	v_add_f64 v[186:187], v[186:187], v[58:59]
	v_add_f64 v[40:41], v[40:41], -v[24:25]
	v_add_f64 v[46:47], v[46:47], -v[30:31]
	v_add_f64 v[158:159], v[124:125], v[158:159]
	v_add_f64 v[124:125], v[74:75], -v[78:79]
	v_fma_f64 v[227:228], v[227:228], -0.5, v[137:138]
	v_add_f64 v[74:75], v[0:1], v[74:75]
	v_add_f64 v[249:250], v[66:67], -v[62:63]
	v_add_f64 v[251:252], v[60:61], -v[32:33]
	;; [unrolled: 1-line block ×3, first 2 shown]
	v_fma_f64 v[137:138], v[235:236], -0.5, v[137:138]
	v_fma_f64 v[235:236], v[96:97], s[14:15], v[150:151]
	v_fma_f64 v[150:151], v[96:97], s[12:13], v[150:151]
	v_add_f64 v[192:193], v[192:193], v[156:157]
	v_add_f64 v[20:21], v[20:21], -v[72:73]
	v_add_f64 v[154:155], v[154:155], -v[166:167]
	;; [unrolled: 1-line block ×5, first 2 shown]
	v_add_f64 v[118:119], v[118:119], v[129:130]
	v_add_f64 v[166:167], v[190:191], v[166:167]
	;; [unrolled: 1-line block ×3, first 2 shown]
	scratch_store_b64 off, v[145:146], off offset:8 ; 8-byte Folded Spill
	v_add_f64 v[156:157], v[156:157], -v[80:81]
	v_add_f64 v[146:147], v[146:147], -v[182:183]
	v_add_f64 v[172:173], v[172:173], v[218:219]
	v_fma_f64 v[218:219], v[120:121], s[12:13], v[148:149]
	v_fma_f64 v[148:149], v[120:121], s[14:15], v[148:149]
	v_add_f64 v[126:127], v[194:195], v[126:127]
	v_fma_f64 v[194:195], v[102:103], s[14:15], v[92:93]
	v_fma_f64 v[92:93], v[102:103], s[12:13], v[92:93]
	;; [unrolled: 3-line block ×3, first 2 shown]
	v_fma_f64 v[94:95], v[96:97], s[4:5], v[94:95]
	v_fma_f64 v[96:97], v[42:43], s[12:13], v[233:234]
	v_add_f64 v[18:19], v[18:19], v[36:37]
	v_add_f64 v[36:37], v[36:37], -v[28:29]
	v_fma_f64 v[200:201], v[170:171], s[12:13], v[200:201]
	v_add_f64 v[0:1], v[116:117], v[131:132]
	v_fma_f64 v[116:117], v[64:65], s[14:15], v[8:9]
	v_fma_f64 v[130:131], v[70:71], s[12:13], v[10:11]
	v_add_f64 v[22:23], v[186:187], v[22:23]
	v_fma_f64 v[186:187], v[56:57], s[12:13], v[210:211]
	v_add_f64 v[48:49], v[188:189], v[48:49]
	v_fma_f64 v[188:189], v[34:35], s[14:15], v[212:213]
	v_fma_f64 v[212:213], v[34:35], s[12:13], v[212:213]
	v_add_f64 v[74:75], v[74:75], v[78:79]
	v_fma_f64 v[78:79], v[40:41], s[12:13], v[229:230]
	v_fma_f64 v[229:230], v[40:41], s[14:15], v[229:230]
	v_add_f64 v[128:129], v[76:77], -v[82:83]
	v_add_f64 v[76:77], v[2:3], v[76:77]
	v_add_f64 v[80:81], v[192:193], v[80:81]
	v_fma_f64 v[190:191], v[20:21], s[12:13], v[4:5]
	v_fma_f64 v[192:193], v[20:21], s[14:15], v[4:5]
	v_add_f64 v[54:55], v[54:55], -v[86:87]
	v_add_f64 v[26:27], v[26:27], -v[84:85]
	v_add_f64 v[2:3], v[118:119], v[133:134]
	v_fma_f64 v[118:119], v[64:65], s[12:13], v[8:9]
	v_fma_f64 v[132:133], v[70:71], s[14:15], v[10:11]
	v_add_f64 v[4:5], v[166:167], v[182:183]
	v_add_f64 v[8:9], v[66:67], v[62:63]
	;; [unrolled: 1-line block ×3, first 2 shown]
	v_fma_f64 v[245:246], v[154:155], s[12:13], v[184:185]
	v_fma_f64 v[218:219], v[102:103], s[4:5], v[218:219]
	;; [unrolled: 1-line block ×3, first 2 shown]
	scratch_load_b32 v103, off, off offset:68 ; 4-byte Folded Reload
	v_fma_f64 v[194:195], v[120:121], s[4:5], v[194:195]
	v_fma_f64 v[92:93], v[120:121], s[10:11], v[92:93]
	;; [unrolled: 1-line block ×4, first 2 shown]
	v_add_f64 v[152:153], v[247:248], v[251:252]
	v_fma_f64 v[247:248], v[146:147], s[14:15], v[6:7]
	v_fma_f64 v[96:97], v[46:47], s[10:11], v[96:97]
	;; [unrolled: 1-line block ×16, first 2 shown]
	v_add_f64 v[38:39], v[216:217], v[38:39]
	v_fma_f64 v[216:217], v[52:53], s[14:15], v[12:13]
	v_add_f64 v[18:19], v[18:19], v[28:29]
	v_fma_f64 v[28:29], v[58:59], s[12:13], v[14:15]
	;; [unrolled: 2-line block ×3, first 2 shown]
	v_fma_f64 v[253:254], v[58:59], s[14:15], v[14:15]
	v_fma_f64 v[210:211], v[56:57], s[14:15], v[210:211]
	v_add_f64 v[76:77], v[76:77], v[82:83]
	v_fma_f64 v[82:83], v[46:47], s[14:15], v[231:232]
	v_fma_f64 v[233:234], v[42:43], s[14:15], v[233:234]
	;; [unrolled: 1-line block ×15, first 2 shown]
	scratch_load_b32 v97, off, off offset:64 ; 4-byte Folded Reload
	v_fma_f64 v[136:137], v[124:125], s[14:15], v[137:138]
	v_fma_f64 v[227:228], v[26:27], s[12:13], v[227:228]
	v_add_f64 v[6:7], v[80:81], v[72:73]
	v_fma_f64 v[72:73], v[156:157], s[4:5], v[190:191]
	v_fma_f64 v[80:81], v[156:157], s[10:11], v[192:193]
	;; [unrolled: 1-line block ×18, first 2 shown]
	v_add_f64 v[10:11], v[60:61], v[32:33]
	v_fma_f64 v[210:211], v[42:43], s[10:11], v[82:83]
	v_fma_f64 v[229:230], v[46:47], s[4:5], v[233:234]
	;; [unrolled: 1-line block ×6, first 2 shown]
	v_add_f64 v[18:19], v[18:19], v[24:25]
	v_fma_f64 v[150:151], v[124:125], s[10:11], v[150:151]
	v_fma_f64 v[128:129], v[128:129], s[10:11], v[222:223]
	;; [unrolled: 1-line block ×4, first 2 shown]
	v_add_f64 v[16:17], v[38:39], v[30:31]
	v_fma_f64 v[184:185], v[26:27], s[10:11], v[184:185]
	v_fma_f64 v[134:135], v[54:55], s[10:11], v[134:135]
	;; [unrolled: 1-line block ×8, first 2 shown]
	v_add_f64 v[12:13], v[22:23], v[50:51]
	v_add_f64 v[14:15], v[48:49], v[44:45]
	v_fma_f64 v[48:49], v[178:179], s[16:17], v[72:73]
	v_fma_f64 v[50:51], v[196:197], s[16:17], v[156:157]
	;; [unrolled: 1-line block ×16, first 2 shown]
	v_add_f64 v[20:21], v[74:75], v[84:85]
	v_fma_f64 v[72:73], v[114:115], s[16:17], v[130:131]
	v_fma_f64 v[74:75], v[225:226], s[16:17], v[132:133]
	;; [unrolled: 1-line block ×4, first 2 shown]
	v_add_f64 v[22:23], v[76:77], v[86:87]
	v_fma_f64 v[84:85], v[202:203], s[16:17], v[190:191]
	v_fma_f64 v[86:87], v[204:205], s[16:17], v[198:199]
	;; [unrolled: 1-line block ×19, first 2 shown]
	v_add3_u32 v96, 0, v112, v107
	v_add3_u32 v104, 0, v113, v110
	;; [unrolled: 1-line block ×3, first 2 shown]
	s_waitcnt vmcnt(0)
	s_waitcnt_vscnt null, 0x0
	s_barrier
	buffer_gl0_inv
	v_dual_mov_b32 v147, 0 :: v_dual_and_b32 v110, 0xffff, v255
	s_delay_alu instid0(VALU_DEP_1)
	v_mul_u32_u24_e32 v110, 0x4b0, v110
	v_add3_u32 v103, 0, v103, v109
	v_add3_u32 v97, 0, v97, v108
	ds_store_b128 v98, v[0:3]
	ds_store_b128 v98, v[32:35] offset:48
	ds_store_b128 v98, v[24:27] offset:96
	ds_store_b128 v98, v[28:31] offset:144
	ds_store_b128 v98, v[36:39] offset:192
	ds_store_b128 v96, v[4:7]
	ds_store_b128 v96, v[48:51] offset:48
	ds_store_b128 v96, v[40:43] offset:96
	ds_store_b128 v96, v[44:47] offset:144
	ds_store_b128 v96, v[52:55] offset:192
	;; [unrolled: 5-line block ×6, first 2 shown]
	s_waitcnt lgkmcnt(0)
	s_barrier
	buffer_gl0_inv
	s_clause 0x1
	global_load_b128 v[4:7], v106, s[8:9] offset:192
	global_load_b128 v[0:3], v106, s[8:9] offset:208
	scratch_load_b32 v9, off, off offset:28 ; 4-byte Folded Reload
	v_mul_lo_u16 v8, v255, 15
	global_load_b128 v[12:15], v106, s[8:9] offset:224
	s_clause 0x1
	scratch_load_b32 v16, off, off offset:48
	scratch_load_b32 v108, off, off offset:52
	s_waitcnt vmcnt(3)
	v_sub_nc_u16 v8, v9, v8
	scratch_load_b32 v9, off, off offset:32 ; 4-byte Folded Reload
	s_waitcnt vmcnt(2)
	v_mul_u32_u24_e32 v16, 0x8889, v16
	v_and_b32_e32 v99, 0xff, v8
	s_delay_alu instid0(VALU_DEP_2) | instskip(NEXT) | instid1(VALU_DEP_2)
	v_lshrrev_b32_e32 v100, 19, v16
	v_lshlrev_b32_e32 v24, 6, v99
	v_lshlrev_b32_e32 v251, 4, v99
	s_delay_alu instid0(VALU_DEP_3) | instskip(SKIP_4) | instid1(VALU_DEP_1)
	v_mul_lo_u16 v27, v100, 15
	v_mul_u32_u24_e32 v138, 0x4b0, v100
	global_load_b128 v[20:23], v24, s[8:9] offset:192
	s_waitcnt vmcnt(1)
	v_mul_u32_u24_e32 v9, 0x8889, v9
	v_lshrrev_b32_e32 v101, 19, v9
	global_load_b128 v[8:11], v106, s[8:9] offset:240
	v_mul_lo_u16 v17, v101, 15
	v_mul_u32_u24_e32 v111, 0x4b0, v101
	s_delay_alu instid0(VALU_DEP_2)
	v_sub_nc_u16 v25, v108, v17
	global_load_b128 v[16:19], v24, s[8:9] offset:208
	scratch_load_b32 v26, off, off offset:44 ; 4-byte Folded Reload
	global_load_b128 v[28:31], v24, s[8:9] offset:224
	v_and_b32_e32 v102, 0xffff, v25
	scratch_load_b32 v25, off, off offset:24 ; 4-byte Folded Reload
	v_lshlrev_b32_e32 v33, 6, v102
	v_lshlrev_b32_e32 v252, 4, v102
	s_waitcnt vmcnt(2)
	v_mul_u32_u24_e32 v26, 0x8889, v26
	s_delay_alu instid0(VALU_DEP_1)
	v_lshrrev_b32_e32 v103, 19, v26
	s_waitcnt vmcnt(0)
	v_sub_nc_u16 v32, v25, v27
	global_load_b128 v[24:27], v24, s[8:9] offset:240
	scratch_load_b32 v34, off, off offset:40 ; 4-byte Folded Reload
	s_clause 0x1
	global_load_b128 v[76:79], v33, s[8:9] offset:192
	global_load_b128 v[72:75], v33, s[8:9] offset:208
	v_mul_lo_u16 v35, v103, 15
	v_and_b32_e32 v106, 0xffff, v32
	scratch_load_b32 v32, off, off offset:20 ; 4-byte Folded Reload
	s_clause 0x1
	global_load_b128 v[68:71], v33, s[8:9] offset:224
	global_load_b128 v[36:39], v33, s[8:9] offset:240
	v_mul_u32_u24_e32 v139, 0x4b0, v103
	v_lshlrev_b32_e32 v253, 4, v106
	s_waitcnt vmcnt(5)
	v_mul_u32_u24_e32 v34, 0x8889, v34
	s_delay_alu instid0(VALU_DEP_1) | instskip(SKIP_3) | instid1(VALU_DEP_3)
	v_lshrrev_b32_e32 v107, 19, v34
	s_waitcnt vmcnt(2)
	v_sub_nc_u16 v32, v32, v35
	v_lshlrev_b32_e32 v34, 6, v106
	v_mul_lo_u16 v33, v107, 15
	s_delay_alu instid0(VALU_DEP_3)
	v_and_b32_e32 v117, 0xffff, v32
	s_clause 0x1
	global_load_b128 v[64:67], v34, s[8:9] offset:192
	global_load_b128 v[60:63], v34, s[8:9] offset:208
	scratch_load_b32 v32, off, off offset:16 ; 4-byte Folded Reload
	global_load_b128 v[56:59], v34, s[8:9] offset:224
	v_lshlrev_b32_e32 v40, 6, v117
	s_clause 0x1
	global_load_b128 v[52:55], v34, s[8:9] offset:240
	global_load_b128 v[48:51], v40, s[8:9] offset:192
	v_lshlrev_b32_e32 v254, 4, v117
	s_waitcnt vmcnt(3)
	v_sub_nc_u16 v32, v32, v33
	s_delay_alu instid0(VALU_DEP_1)
	v_and_b32_e32 v116, 0xffff, v32
	s_clause 0x1
	global_load_b128 v[44:47], v40, s[8:9] offset:208
	global_load_b128 v[32:35], v40, s[8:9] offset:224
	v_lshlrev_b32_e32 v92, 6, v116
	s_clause 0x4
	global_load_b128 v[40:43], v40, s[8:9] offset:240
	global_load_b128 v[80:83], v92, s[8:9] offset:192
	;; [unrolled: 1-line block ×5, first 2 shown]
	scratch_load_b64 v[96:97], off, off offset:8 ; 8-byte Folded Reload
	ds_load_b128 v[118:121], v224 offset:12000
	ds_load_b128 v[122:125], v224 offset:24000
	scratch_load_b64 v[97:98], off, off offset:8 ; 8-byte Folded Reload
	ds_load_b128 v[126:129], v224 offset:36000
	v_lshlrev_b32_e32 v255, 4, v116
	s_waitcnt lgkmcnt(2)
	v_mul_f64 v[104:105], v[120:121], v[6:7]
	s_waitcnt lgkmcnt(1)
	v_mul_f64 v[114:115], v[124:125], v[2:3]
	v_mul_f64 v[140:141], v[122:123], v[2:3]
	;; [unrolled: 1-line block ×3, first 2 shown]
	s_waitcnt lgkmcnt(0)
	v_mul_f64 v[144:145], v[128:129], v[14:15]
	v_mul_f64 v[14:15], v[126:127], v[14:15]
	v_fma_f64 v[104:105], v[118:119], v[4:5], -v[104:105]
	v_fma_f64 v[114:115], v[122:123], v[0:1], -v[114:115]
	v_fma_f64 v[0:1], v[124:125], v[0:1], v[140:141]
	v_fma_f64 v[233:234], v[120:121], v[4:5], v[6:7]
	v_fma_f64 v[126:127], v[126:127], v[12:13], -v[144:145]
	v_fma_f64 v[128:129], v[128:129], v[12:13], v[14:15]
	s_delay_alu instid0(VALU_DEP_1)
	v_add_f64 v[100:101], v[0:1], -v[128:129]
	s_waitcnt vmcnt(1)
	v_add_nc_u32_e32 v96, 0xffffffb5, v96
	s_waitcnt vmcnt(0)
	v_cmp_gt_u32_e64 s0, 0x4b, v97
	scratch_load_b64 v[97:98], off, off offset:8 ; 8-byte Folded Reload
	s_waitcnt vmcnt(0)
	v_cndmask_b32_e64 v96, v96, v97, s0
	scratch_store_b32 off, v96, off offset:40 ; 4-byte Folded Spill
	v_mul_i32_i24_e32 v146, 9, v96
	scratch_load_b32 v96, off, off offset:56 ; 4-byte Folded Reload
	ds_load_b128 v[130:133], v224 offset:48000
	ds_load_b128 v[134:137], v224 offset:10000
	;; [unrolled: 1-line block ×6, first 2 shown]
	scratch_load_b32 v2, off, off offset:60 ; 4-byte Folded Reload
	ds_load_b128 v[164:167], v224 offset:46000
	ds_load_b128 v[168:171], v224 offset:38000
	;; [unrolled: 1-line block ×15, first 2 shown]
	s_waitcnt lgkmcnt(20)
	v_mul_f64 v[225:226], v[132:133], v[10:11]
	v_mul_f64 v[10:11], v[130:131], v[10:11]
	s_waitcnt lgkmcnt(17)
	v_mul_f64 v[227:228], v[154:155], v[22:23]
	v_mul_f64 v[22:23], v[152:153], v[22:23]
	s_waitcnt lgkmcnt(16)
	v_mul_f64 v[229:230], v[158:159], v[18:19]
	s_waitcnt lgkmcnt(13)
	v_mul_f64 v[231:232], v[170:171], v[30:31]
	v_mul_f64 v[30:31], v[168:169], v[30:31]
	s_waitcnt lgkmcnt(9)
	v_mul_f64 v[6:7], v[186:187], v[26:27]
	v_mul_f64 v[26:27], v[184:185], v[26:27]
	;; [unrolled: 1-line block ×7, first 2 shown]
	s_waitcnt lgkmcnt(8)
	v_mul_f64 v[140:141], v[190:191], v[38:39]
	v_mul_f64 v[38:39], v[188:189], v[38:39]
	s_waitcnt lgkmcnt(7)
	v_mul_f64 v[144:145], v[194:195], v[66:67]
	v_mul_f64 v[66:67], v[192:193], v[66:67]
	v_mul_f64 v[18:19], v[156:157], v[18:19]
	v_mul_f64 v[78:79], v[172:173], v[78:79]
	s_waitcnt lgkmcnt(4)
	v_mul_f64 v[235:236], v[206:207], v[46:47]
	v_mul_f64 v[46:47], v[204:205], v[46:47]
	v_fma_f64 v[130:131], v[130:131], v[8:9], -v[225:226]
	v_mul_f64 v[225:226], v[202:203], v[62:63]
	v_mul_f64 v[62:63], v[200:201], v[62:63]
	v_fma_f64 v[152:153], v[152:153], v[20:21], -v[227:228]
	v_fma_f64 v[22:23], v[154:155], v[20:21], v[22:23]
	s_waitcnt lgkmcnt(3)
	v_mul_f64 v[154:155], v[210:211], v[58:59]
	v_mul_f64 v[58:59], v[208:209], v[58:59]
	s_waitcnt lgkmcnt(1)
	v_mul_f64 v[227:228], v[218:219], v[54:55]
	v_mul_f64 v[54:55], v[216:217], v[54:55]
	v_fma_f64 v[156:157], v[156:157], v[16:17], -v[229:230]
	v_mul_f64 v[229:230], v[198:199], v[50:51]
	v_mul_f64 v[50:51], v[196:197], v[50:51]
	v_fma_f64 v[168:169], v[168:169], v[28:29], -v[231:232]
	v_fma_f64 v[28:29], v[170:171], v[28:29], v[30:31]
	v_mul_f64 v[30:31], v[214:215], v[34:35]
	v_mul_f64 v[34:35], v[212:213], v[34:35]
	s_waitcnt lgkmcnt(0)
	v_mul_f64 v[170:171], v[222:223], v[42:43]
	v_mul_f64 v[42:43], v[220:221], v[42:43]
	v_fma_f64 v[132:133], v[132:133], v[8:9], v[10:11]
	v_fma_f64 v[184:185], v[184:185], v[24:25], -v[6:7]
	v_fma_f64 v[24:25], v[186:187], v[24:25], v[26:27]
	v_mul_f64 v[26:27], v[150:151], v[82:83]
	v_mul_f64 v[82:83], v[148:149], v[82:83]
	;; [unrolled: 1-line block ×4, first 2 shown]
	v_fma_f64 v[122:123], v[172:173], v[76:77], -v[122:123]
	v_fma_f64 v[112:113], v[176:177], v[72:73], -v[124:125]
	v_fma_f64 v[72:73], v[178:179], v[72:73], v[74:75]
	v_fma_f64 v[74:75], v[180:181], v[68:69], -v[14:15]
	v_fma_f64 v[68:69], v[182:183], v[68:69], v[70:71]
	;; [unrolled: 2-line block ×4, first 2 shown]
	v_fma_f64 v[158:159], v[158:159], v[16:17], v[18:19]
	v_fma_f64 v[76:77], v[174:175], v[76:77], v[78:79]
	v_mul_f64 v[78:79], v[166:167], v[90:91]
	v_mul_f64 v[90:91], v[164:165], v[90:91]
	v_add_f64 v[140:141], v[0:1], v[128:129]
	v_fma_f64 v[66:67], v[200:201], v[60:61], -v[225:226]
	v_fma_f64 v[60:61], v[202:203], v[60:61], v[62:63]
	v_add_f64 v[124:125], v[114:115], v[126:127]
	v_fma_f64 v[62:63], v[208:209], v[56:57], -v[154:155]
	v_fma_f64 v[56:57], v[210:211], v[56:57], v[58:59]
	v_fma_f64 v[58:59], v[216:217], v[52:53], -v[227:228]
	v_fma_f64 v[52:53], v[218:219], v[52:53], v[54:55]
	v_add_f64 v[154:155], v[233:234], -v[0:1]
	v_fma_f64 v[54:55], v[196:197], v[48:49], -v[229:230]
	v_fma_f64 v[48:49], v[198:199], v[48:49], v[50:51]
	v_fma_f64 v[50:51], v[204:205], v[44:45], -v[235:236]
	v_fma_f64 v[44:45], v[206:207], v[44:45], v[46:47]
	;; [unrolled: 2-line block ×4, first 2 shown]
	v_add_f64 v[178:179], v[156:157], v[168:169]
	v_add_f64 v[174:175], v[152:153], v[184:185]
	v_add_f64 v[188:189], v[152:153], -v[156:157]
	v_fma_f64 v[26:27], v[148:149], v[80:81], -v[26:27]
	v_fma_f64 v[42:43], v[150:151], v[80:81], v[82:83]
	v_fma_f64 v[46:47], v[160:161], v[84:85], -v[186:187]
	v_fma_f64 v[80:81], v[162:163], v[84:85], v[86:87]
	v_add_f64 v[150:151], v[104:105], -v[114:115]
	v_add_f64 v[160:161], v[130:131], -v[126:127]
	;; [unrolled: 1-line block ×3, first 2 shown]
	v_add_f64 v[194:195], v[112:113], v[74:75]
	v_add_f64 v[192:193], v[184:185], -v[168:169]
	v_add_f64 v[198:199], v[122:123], v[70:71]
	v_add_f64 v[176:177], v[22:23], v[24:25]
	;; [unrolled: 1-line block ×3, first 2 shown]
	v_add_f64 v[202:203], v[24:25], -v[28:29]
	v_add_f64 v[170:171], v[158:159], -v[22:23]
	v_add_f64 v[180:181], v[158:159], v[28:29]
	v_fma_f64 v[78:79], v[164:165], v[88:89], -v[78:79]
	v_fma_f64 v[82:83], v[166:167], v[88:89], v[90:91]
	v_add_f64 v[88:89], v[0:1], -v[233:234]
	v_add_f64 v[90:91], v[128:129], -v[132:133]
	v_add_f64 v[164:165], v[156:157], -v[152:153]
	v_add_f64 v[166:167], v[168:169], -v[184:185]
	v_add_f64 v[190:191], v[22:23], -v[158:159]
	v_add_f64 v[206:207], v[66:67], v[62:63]
	v_add_f64 v[208:209], v[60:61], v[56:57]
	;; [unrolled: 1-line block ×5, first 2 shown]
	v_add_f64 v[204:205], v[122:123], -v[112:113]
	v_add_f64 v[214:215], v[70:71], -v[74:75]
	;; [unrolled: 1-line block ×4, first 2 shown]
	v_add_f64 v[218:219], v[50:51], v[30:31]
	v_add_f64 v[220:221], v[44:45], v[32:33]
	v_add_f64 v[222:223], v[54:55], v[34:35]
	v_add_f64 v[225:226], v[48:49], v[40:41]
	v_add_f64 v[235:236], v[112:113], -v[122:123]
	v_add_f64 v[239:240], v[74:75], -v[70:71]
	;; [unrolled: 1-line block ×9, first 2 shown]
	v_add_f64 v[154:155], v[154:155], v[162:163]
	v_add_f64 v[88:89], v[88:89], v[90:91]
	;; [unrolled: 1-line block ×3, first 2 shown]
	v_add_f64 v[150:151], v[40:41], -v[32:33]
	v_add_f64 v[162:163], v[164:165], v[166:167]
	v_add_f64 v[164:165], v[44:45], -v[48:49]
	v_add_f64 v[160:161], v[50:51], -v[54:55]
	v_add_f64 v[190:191], v[190:191], v[202:203]
	v_add_f64 v[202:203], v[204:205], v[214:215]
	;; [unrolled: 1-line block ×3, first 2 shown]
	s_waitcnt vmcnt(1)
	v_and_b32_e32 v98, 0xffff, v96
	v_lshlrev_b64 v[96:97], 4, v[146:147]
	v_mul_u32_u24_e32 v146, 0x4b0, v107
	v_add_f64 v[106:107], v[114:115], -v[126:127]
	s_waitcnt vmcnt(0)
	v_lshlrev_b32_e32 v109, 4, v2
	ds_load_b128 v[2:5], v224 offset:58000
	ds_load_b128 v[118:121], v224
	ds_load_b128 v[6:9], v224 offset:2000
	ds_load_b128 v[10:13], v224 offset:4000
	;; [unrolled: 1-line block ×4, first 2 shown]
	v_mul_u32_u24_e32 v98, 0x4b0, v98
	v_add_co_u32 v96, s0, s8, v96
	s_delay_alu instid0(VALU_DEP_1) | instskip(NEXT) | instid1(VALU_DEP_3)
	v_add_co_ci_u32_e64 v97, s0, s9, v97, s0
	v_add3_u32 v109, 0, v98, v109
	s_waitcnt lgkmcnt(5)
	v_mul_f64 v[172:173], v[4:5], v[94:95]
	v_mul_f64 v[94:95], v[2:3], v[94:95]
	s_waitcnt lgkmcnt(4)
	v_add_f64 v[148:149], v[120:121], v[233:234]
	v_add_f64 v[144:145], v[118:119], v[104:105]
	s_waitcnt lgkmcnt(2)
	v_add_f64 v[229:230], v[10:11], v[122:123]
	v_fma_f64 v[194:195], v[194:195], -0.5, v[10:11]
	v_fma_f64 v[10:11], v[198:199], -0.5, v[10:11]
	v_add_f64 v[198:199], v[60:61], -v[64:65]
	s_waitcnt lgkmcnt(1)
	v_fma_f64 v[206:207], v[206:207], -0.5, v[14:15]
	v_add_f64 v[182:183], v[6:7], v[152:153]
	v_fma_f64 v[174:175], v[174:175], -0.5, v[6:7]
	v_fma_f64 v[6:7], v[178:179], -0.5, v[6:7]
	v_add_f64 v[178:179], v[16:17], v[64:65]
	v_fma_f64 v[208:209], v[208:209], -0.5, v[16:17]
	v_fma_f64 v[16:17], v[212:213], -0.5, v[16:17]
	s_waitcnt lgkmcnt(0)
	v_add_f64 v[212:213], v[18:19], v[54:55]
	v_fma_f64 v[218:219], v[218:219], -0.5, v[18:19]
	v_fma_f64 v[18:19], v[222:223], -0.5, v[18:19]
	;; [unrolled: 1-line block ×3, first 2 shown]
	v_add_f64 v[225:226], v[54:55], -v[50:51]
	v_add_f64 v[186:187], v[8:9], v[22:23]
	v_add_f64 v[231:232], v[12:13], v[76:77]
	v_fma_f64 v[176:177], v[176:177], -0.5, v[8:9]
	v_fma_f64 v[8:9], v[180:181], -0.5, v[8:9]
	v_add_f64 v[180:181], v[66:67], -v[38:39]
	v_fma_f64 v[196:197], v[196:197], -0.5, v[12:13]
	v_fma_f64 v[12:13], v[200:201], -0.5, v[12:13]
	v_add_f64 v[200:201], v[62:63], -v[58:59]
	v_fma_f64 v[220:221], v[220:221], -0.5, v[20:21]
	v_add_f64 v[20:21], v[20:21], v[48:49]
	v_add_f64 v[22:23], v[22:23], -v[24:25]
	v_add_f64 v[152:153], v[152:153], -v[184:185]
	;; [unrolled: 1-line block ×6, first 2 shown]
	v_fma_f64 v[84:85], v[2:3], v[92:93], -v[172:173]
	v_fma_f64 v[86:87], v[4:5], v[92:93], v[94:95]
	v_add_f64 v[94:95], v[233:234], v[132:133]
	v_add_f64 v[2:3], v[114:115], -v[104:105]
	v_add_f64 v[4:5], v[126:127], -v[130:131]
	v_add_f64 v[172:173], v[28:29], -v[24:25]
	v_add_f64 v[92:93], v[104:105], v[130:131]
	v_add_f64 v[98:99], v[148:149], v[0:1]
	;; [unrolled: 1-line block ×6, first 2 shown]
	v_add_f64 v[104:105], v[104:105], -v[130:131]
	v_add_f64 v[144:145], v[235:236], v[239:240]
	v_add_f64 v[182:183], v[182:183], v[156:157]
	v_add_f64 v[156:157], v[156:157], -v[168:169]
	v_add_f64 v[229:230], v[229:230], v[112:113]
	v_add_f64 v[112:113], v[112:113], -v[74:75]
	;; [unrolled: 2-line block ×6, first 2 shown]
	v_add_f64 v[227:228], v[243:244], v[245:246]
	v_add_f64 v[180:181], v[180:181], v[200:201]
	;; [unrolled: 1-line block ×3, first 2 shown]
	v_fma_f64 v[237:238], v[152:153], s[14:15], v[8:9]
	v_fma_f64 v[8:9], v[152:153], s[12:13], v[8:9]
	;; [unrolled: 1-line block ×4, first 2 shown]
	v_add_f64 v[204:205], v[84:85], -v[78:79]
	v_add_f64 v[148:149], v[86:87], -v[82:83]
	v_fma_f64 v[94:95], v[94:95], -0.5, v[120:121]
	v_fma_f64 v[120:121], v[140:141], -0.5, v[120:121]
	v_add_f64 v[140:141], v[14:15], v[38:39]
	v_fma_f64 v[14:15], v[210:211], -0.5, v[14:15]
	v_add_f64 v[210:211], v[56:57], -v[52:53]
	v_add_f64 v[249:250], v[2:3], v[4:5]
	v_add_f64 v[2:3], v[34:35], -v[30:31]
	v_add_f64 v[4:5], v[48:49], -v[44:45]
	v_add_f64 v[166:167], v[170:171], v[172:173]
	v_add_f64 v[172:173], v[188:189], v[192:193]
	v_add_f64 v[188:189], v[32:33], -v[40:41]
	v_add_f64 v[170:171], v[30:31], -v[34:35]
	;; [unrolled: 1-line block ×3, first 2 shown]
	v_fma_f64 v[92:93], v[92:93], -0.5, v[118:119]
	v_fma_f64 v[118:119], v[124:125], -0.5, v[118:119]
	v_add_f64 v[200:201], v[42:43], v[86:87]
	v_add_f64 v[235:236], v[26:27], v[84:85]
	;; [unrolled: 1-line block ×3, first 2 shown]
	v_add_f64 v[38:39], v[38:39], -v[58:59]
	v_add_f64 v[0:1], v[0:1], v[126:127]
	v_add_f64 v[48:49], v[48:49], -v[40:41]
	v_add_f64 v[128:129], v[46:47], -v[78:79]
	;; [unrolled: 1-line block ×5, first 2 shown]
	v_add_f64 v[168:169], v[182:183], v[168:169]
	v_fma_f64 v[182:183], v[22:23], s[12:13], v[6:7]
	v_add_f64 v[28:29], v[186:187], v[28:29]
	v_fma_f64 v[186:187], v[22:23], s[14:15], v[6:7]
	v_add_f64 v[74:75], v[229:230], v[74:75]
	v_fma_f64 v[229:230], v[122:123], s[14:15], v[196:197]
	v_add_f64 v[68:69], v[231:232], v[68:69]
	v_fma_f64 v[231:232], v[72:73], s[14:15], v[10:11]
	v_fma_f64 v[241:242], v[72:73], s[12:13], v[10:11]
	v_fma_f64 v[196:197], v[122:123], s[12:13], v[196:197]
	v_add_f64 v[56:57], v[178:179], v[56:57]
	v_add_f64 v[30:31], v[212:213], v[30:31]
	;; [unrolled: 1-line block ×3, first 2 shown]
	v_fma_f64 v[116:117], v[216:217], -0.5, v[134:135]
	v_fma_f64 v[216:217], v[233:234], -0.5, v[136:137]
	v_add_f64 v[140:141], v[140:141], v[66:67]
	v_add_f64 v[66:67], v[66:67], -v[62:63]
	v_add_f64 v[198:199], v[198:199], v[210:211]
	v_add_f64 v[210:211], v[134:135], v[26:27]
	;; [unrolled: 1-line block ×5, first 2 shown]
	v_add_f64 v[4:5], v[46:47], -v[26:27]
	v_add_f64 v[164:165], v[164:165], v[188:189]
	v_add_f64 v[188:189], v[78:79], -v[84:85]
	v_add_f64 v[160:161], v[160:161], v[170:171]
	;; [unrolled: 2-line block ×3, first 2 shown]
	v_add_f64 v[204:205], v[82:83], -v[86:87]
	v_add_f64 v[42:43], v[42:43], -v[86:87]
	;; [unrolled: 1-line block ×3, first 2 shown]
	v_fma_f64 v[136:137], v[200:201], -0.5, v[136:137]
	v_fma_f64 v[200:201], v[106:107], s[12:13], v[94:95]
	v_fma_f64 v[94:95], v[106:107], s[14:15], v[94:95]
	v_fma_f64 v[134:135], v[235:236], -0.5, v[134:135]
	v_fma_f64 v[235:236], v[156:157], s[12:13], v[176:177]
	v_fma_f64 v[176:177], v[156:157], s[14:15], v[176:177]
	;; [unrolled: 1-line block ×4, first 2 shown]
	v_add_f64 v[0:1], v[0:1], v[130:131]
	v_fma_f64 v[130:131], v[64:65], s[12:13], v[206:207]
	v_fma_f64 v[178:179], v[60:61], s[14:15], v[14:15]
	v_add_f64 v[20:21], v[20:21], v[32:33]
	v_fma_f64 v[32:33], v[48:49], s[12:13], v[218:219]
	v_fma_f64 v[218:219], v[48:49], s[14:15], v[218:219]
	;; [unrolled: 1-line block ×3, first 2 shown]
	v_add_f64 v[124:125], v[247:248], v[124:125]
	v_add_f64 v[10:11], v[68:69], v[36:37]
	v_fma_f64 v[68:69], v[76:77], s[4:5], v[231:232]
	v_add_f64 v[6:7], v[28:29], v[24:25]
	v_add_f64 v[62:63], v[140:141], v[62:63]
	v_fma_f64 v[140:141], v[64:65], s[14:15], v[206:207]
	v_fma_f64 v[212:213], v[66:67], s[12:13], v[16:17]
	v_add_f64 v[46:47], v[210:211], v[46:47]
	v_fma_f64 v[210:211], v[104:105], s[14:15], v[120:121]
	v_add_f64 v[80:81], v[2:3], v[80:81]
	;; [unrolled: 2-line block ×4, first 2 shown]
	v_fma_f64 v[4:5], v[100:101], s[14:15], v[92:93]
	v_fma_f64 v[92:93], v[100:101], s[12:13], v[92:93]
	v_fma_f64 v[12:13], v[112:113], s[14:15], v[12:13]
	v_add_f64 v[170:171], v[170:171], v[204:205]
	v_fma_f64 v[204:205], v[102:103], s[12:13], v[118:119]
	v_fma_f64 v[118:119], v[102:103], s[14:15], v[118:119]
	v_fma_f64 v[132:133], v[38:39], s[14:15], v[208:209]
	v_fma_f64 v[206:207], v[38:39], s[12:13], v[208:209]
	v_fma_f64 v[208:209], v[60:61], s[12:13], v[14:15]
	v_fma_f64 v[16:17], v[66:67], s[14:15], v[16:17]
	v_fma_f64 v[200:201], v[104:105], s[10:11], v[200:201]
	v_fma_f64 v[94:95], v[104:105], s[4:5], v[94:95]
	v_fma_f64 v[104:105], v[42:43], s[12:13], v[116:117]
	v_fma_f64 v[247:248], v[128:129], s[12:13], v[136:137]
	v_fma_f64 v[136:137], v[128:129], s[14:15], v[136:137]
	v_fma_f64 v[116:117], v[42:43], s[14:15], v[116:117]
	v_fma_f64 v[235:236], v[152:153], s[10:11], v[235:236]
	v_fma_f64 v[152:153], v[152:153], s[4:5], v[176:177]
	v_fma_f64 v[176:177], v[156:157], s[10:11], v[237:238]
	v_fma_f64 v[233:234], v[22:23], s[4:5], v[233:234]
	v_fma_f64 v[174:175], v[22:23], s[10:11], v[174:175]
	v_fma_f64 v[156:157], v[156:157], s[4:5], v[8:9]
	v_add_f64 v[8:9], v[74:75], v[70:71]
	v_fma_f64 v[70:71], v[76:77], s[10:11], v[241:242]
	v_add_f64 v[14:15], v[56:57], v[52:53]
	v_add_f64 v[46:47], v[46:47], v[78:79]
	v_fma_f64 v[78:79], v[54:55], s[14:15], v[220:221]
	v_add_f64 v[80:81], v[80:81], v[82:83]
	v_fma_f64 v[82:83], v[44:45], s[14:15], v[18:19]
	v_fma_f64 v[220:221], v[54:55], s[12:13], v[220:221]
	;; [unrolled: 1-line block ×14, first 2 shown]
	v_add_f64 v[4:5], v[168:169], v[184:185]
	v_fma_f64 v[168:169], v[158:159], s[4:5], v[182:183]
	v_fma_f64 v[158:159], v[158:159], s[10:11], v[186:187]
	;; [unrolled: 1-line block ×26, first 2 shown]
	v_add_f64 v[16:17], v[30:31], v[34:35]
	v_fma_f64 v[34:35], v[154:155], s[16:17], v[210:211]
	v_fma_f64 v[24:25], v[249:250], s[16:17], v[245:246]
	;; [unrolled: 1-line block ×16, first 2 shown]
	v_add_f64 v[18:19], v[20:21], v[40:41]
	v_fma_f64 v[40:41], v[162:163], s[16:17], v[233:234]
	v_fma_f64 v[42:43], v[166:167], s[16:17], v[235:236]
	v_add_f64 v[20:21], v[46:47], v[84:85]
	v_fma_f64 v[44:45], v[162:163], s[16:17], v[174:175]
	v_fma_f64 v[46:47], v[166:167], s[16:17], v[152:153]
	;; [unrolled: 1-line block ×4, first 2 shown]
	v_add_f64 v[12:13], v[62:63], v[58:59]
	v_fma_f64 v[56:57], v[202:203], s[16:17], v[182:183]
	v_fma_f64 v[58:59], v[114:115], s[16:17], v[184:185]
	;; [unrolled: 1-line block ×10, first 2 shown]
	v_add_f64 v[22:23], v[80:81], v[86:87]
	v_fma_f64 v[80:81], v[180:181], s[16:17], v[140:141]
	v_fma_f64 v[82:83], v[198:199], s[16:17], v[186:187]
	;; [unrolled: 1-line block ×22, first 2 shown]
	v_add3_u32 v102, 0, v110, v251
	v_add3_u32 v103, 0, v111, v252
	;; [unrolled: 1-line block ×4, first 2 shown]
	scratch_load_b64 v[253:254], off, off offset:8 ; 8-byte Folded Reload
	v_add3_u32 v106, 0, v146, v255
	s_waitcnt vmcnt(0)
	s_waitcnt_vscnt null, 0x0
	s_barrier
	buffer_gl0_inv
	ds_store_b128 v109, v[0:3]
	ds_store_b128 v109, v[32:35] offset:240
	ds_store_b128 v109, v[24:27] offset:480
	ds_store_b128 v109, v[28:31] offset:720
	ds_store_b128 v109, v[36:39] offset:960
	ds_store_b128 v102, v[4:7]
	ds_store_b128 v102, v[48:51] offset:240
	ds_store_b128 v102, v[40:43] offset:480
	ds_store_b128 v102, v[44:47] offset:720
	ds_store_b128 v102, v[52:55] offset:960
	;; [unrolled: 5-line block ×6, first 2 shown]
	s_waitcnt lgkmcnt(0)
	s_barrier
	buffer_gl0_inv
	s_clause 0x1
	global_load_b128 v[4:7], v[96:97], off offset:1152
	global_load_b128 v[0:3], v[96:97], off offset:1168
	scratch_load_b32 v8, off, off offset:36 ; 4-byte Folded Reload
	s_clause 0x1
	global_load_b128 v[16:19], v[96:97], off offset:1184
	global_load_b128 v[12:15], v[96:97], off offset:1200
	s_clause 0x1
	scratch_load_b32 v21, off, off offset:32
	scratch_load_b32 v114, off, off offset:28
	global_load_b128 v[68:71], v[96:97], off offset:1248
	v_mov_b32_e32 v113, v108
	global_load_b128 v[72:75], v[96:97], off offset:1232
	v_lshlrev_b32_e32 v146, 2, v253
	v_cmp_lt_u32_e64 s0, 0x4a, v253
	s_delay_alu instid0(VALU_DEP_2) | instskip(NEXT) | instid1(VALU_DEP_2)
	v_lshlrev_b64 v[110:111], 4, v[146:147]
	v_cndmask_b32_e64 v109, 0, 0x2ee0, s0
	s_waitcnt vmcnt(6)
	v_mul_lo_u16 v8, 0xdb, v8
	s_waitcnt vmcnt(3)
	v_mul_u32_u24_e32 v21, 0xb4e9, v21
	s_waitcnt vmcnt(2)
	v_lshlrev_b32_e32 v146, 2, v114
	v_lshrrev_b16 v112, 14, v8
	global_load_b128 v[8:11], v[96:97], off offset:1216
	v_lshrrev_b32_e32 v21, 16, v21
	s_clause 0x1
	global_load_b128 v[64:67], v[96:97], off offset:1264
	global_load_b128 v[60:63], v[96:97], off offset:1280
	v_mul_lo_u16 v20, 0x4b, v112
	v_and_b32_e32 v112, 0xffff, v112
	s_delay_alu instid0(VALU_DEP_2) | instskip(NEXT) | instid1(VALU_DEP_2)
	v_sub_nc_u16 v20, v114, v20
	v_mul_u32_u24_e32 v120, 0x2ee0, v112
	v_add_co_u32 v112, s0, s8, v110
	v_lshlrev_b64 v[114:115], 4, v[146:147]
	s_delay_alu instid0(VALU_DEP_4) | instskip(SKIP_3) | instid1(VALU_DEP_4)
	v_and_b32_e32 v118, 0xff, v20
	v_sub_nc_u16 v20, v108, v21
	v_lshlrev_b32_e32 v146, 2, v113
	v_add_co_ci_u32_e64 v113, s0, s9, v111, s0
	v_mul_u32_u24_e32 v22, 9, v118
	s_delay_alu instid0(VALU_DEP_4) | instskip(NEXT) | instid1(VALU_DEP_2)
	v_lshrrev_b16 v20, 1, v20
	v_lshlrev_b32_e32 v32, 4, v22
	s_delay_alu instid0(VALU_DEP_2)
	v_add_nc_u16 v20, v20, v21
	s_clause 0x1
	global_load_b128 v[56:59], v32, s[8:9] offset:1152
	global_load_b128 v[52:55], v32, s[8:9] offset:1168
	v_lshrrev_b16 v116, 6, v20
	s_clause 0x3
	global_load_b128 v[48:51], v32, s[8:9] offset:1184
	global_load_b128 v[40:43], v32, s[8:9] offset:1200
	;; [unrolled: 1-line block ×4, first 2 shown]
	v_mul_lo_u16 v20, 0x4b, v116
	s_delay_alu instid0(VALU_DEP_1) | instskip(NEXT) | instid1(VALU_DEP_1)
	v_sub_nc_u16 v20, v108, v20
	v_and_b32_e32 v117, 0xffff, v20
	s_clause 0x1
	global_load_b128 v[24:27], v32, s[8:9] offset:1248
	global_load_b128 v[20:23], v32, s[8:9] offset:1264
	v_mul_u32_u24_e32 v33, 9, v117
	s_delay_alu instid0(VALU_DEP_1)
	v_lshlrev_b32_e32 v104, 4, v33
	s_clause 0x9
	global_load_b128 v[32:35], v32, s[8:9] offset:1280
	global_load_b128 v[44:47], v104, s[8:9] offset:1152
	global_load_b128 v[76:79], v104, s[8:9] offset:1168
	global_load_b128 v[80:83], v104, s[8:9] offset:1184
	global_load_b128 v[84:87], v104, s[8:9] offset:1200
	global_load_b128 v[88:91], v104, s[8:9] offset:1216
	global_load_b128 v[92:95], v104, s[8:9] offset:1232
	global_load_b128 v[96:99], v104, s[8:9] offset:1248
	global_load_b128 v[100:103], v104, s[8:9] offset:1264
	global_load_b128 v[104:107], v104, s[8:9] offset:1280
	ds_load_b128 v[121:124], v224 offset:6000
	ds_load_b128 v[125:128], v224 offset:12000
	s_clause 0x1
	scratch_load_b32 v108, off, off offset:40
	scratch_load_b32 v110, off, off offset:24
	ds_load_b128 v[129:132], v224 offset:18000
	ds_load_b128 v[133:136], v224 offset:24000
	;; [unrolled: 1-line block ×13, first 2 shown]
	s_waitcnt lgkmcnt(14)
	v_mul_f64 v[137:138], v[123:124], v[6:7]
	v_mul_f64 v[139:140], v[121:122], v[6:7]
	scratch_load_b32 v7, off, off offset:20 ; 4-byte Folded Reload
	s_waitcnt lgkmcnt(13)
	v_mul_f64 v[144:145], v[127:128], v[2:3]
	v_mul_f64 v[220:221], v[125:126], v[2:3]
	s_waitcnt lgkmcnt(12)
	v_mul_f64 v[222:223], v[131:132], v[18:19]
	v_mul_f64 v[18:19], v[129:130], v[18:19]
	ds_load_b128 v[192:195], v224 offset:44000
	ds_load_b128 v[196:199], v224 offset:46000
	;; [unrolled: 1-line block ×7, first 2 shown]
	s_waitcnt vmcnt(25) lgkmcnt(10)
	v_mul_f64 v[231:232], v[178:179], v[70:71]
	v_mul_f64 v[70:71], v[176:177], v[70:71]
	;; [unrolled: 1-line block ×4, first 2 shown]
	v_lshlrev_b32_e32 v6, 4, v118
	s_delay_alu instid0(VALU_DEP_1)
	v_add3_u32 v6, 0, v120, v6
	v_fma_f64 v[137:138], v[121:122], v[4:5], -v[137:138]
	v_fma_f64 v[139:140], v[123:124], v[4:5], v[139:140]
	v_fma_f64 v[18:19], v[131:132], v[16:17], v[18:19]
	v_fma_f64 v[225:226], v[133:134], v[12:13], -v[225:226]
	v_fma_f64 v[227:228], v[135:136], v[12:13], v[227:228]
	s_waitcnt vmcnt(23)
	v_mul_f64 v[229:230], v[150:151], v[10:11]
	v_mul_f64 v[10:11], v[148:149], v[10:11]
	s_waitcnt vmcnt(22) lgkmcnt(9)
	v_mul_f64 v[233:234], v[182:183], v[66:67]
	v_mul_f64 v[66:67], v[180:181], v[66:67]
	s_waitcnt vmcnt(21) lgkmcnt(8)
	v_mul_f64 v[235:236], v[186:187], v[62:63]
	v_mul_f64 v[4:5], v[184:185], v[62:63]
	v_fma_f64 v[62:63], v[125:126], v[0:1], -v[144:145]
	v_fma_f64 v[144:145], v[127:128], v[0:1], v[220:221]
	v_fma_f64 v[220:221], v[129:130], v[16:17], -v[222:223]
	ds_load_b128 v[121:124], v224 offset:38000
	ds_load_b128 v[125:128], v224 offset:40000
	;; [unrolled: 1-line block ×4, first 2 shown]
	s_waitcnt vmcnt(20)
	v_mul_f64 v[0:1], v[154:155], v[58:59]
	v_mul_f64 v[58:59], v[152:153], v[58:59]
	s_waitcnt vmcnt(19) lgkmcnt(7)
	v_mul_f64 v[222:223], v[206:207], v[54:55]
	v_mul_f64 v[54:55], v[204:205], v[54:55]
	v_fma_f64 v[148:149], v[148:149], v[8:9], -v[229:230]
	v_fma_f64 v[150:151], v[150:151], v[8:9], v[10:11]
	s_waitcnt vmcnt(17) lgkmcnt(5)
	v_mul_f64 v[229:230], v[214:215], v[42:43]
	v_mul_f64 v[42:43], v[212:213], v[42:43]
	v_fma_f64 v[184:185], v[184:185], v[60:61], -v[235:236]
	v_fma_f64 v[60:61], v[186:187], v[60:61], v[4:5]
	ds_load_b128 v[9:12], v224 offset:58000
	ds_load_b128 v[133:136], v224
	s_waitcnt vmcnt(10)
	v_mul_f64 v[186:187], v[210:211], v[78:79]
	v_mul_f64 v[78:79], v[208:209], v[78:79]
	s_waitcnt vmcnt(2)
	v_lshlrev_b32_e32 v108, 4, v108
	v_fma_f64 v[152:153], v[152:153], v[56:57], -v[0:1]
	s_delay_alu instid0(VALU_DEP_2) | instskip(SKIP_4) | instid1(VALU_DEP_1)
	v_add3_u32 v119, 0, v109, v108
	v_lshlrev_b64 v[108:109], 4, v[146:147]
	s_waitcnt vmcnt(1)
	v_lshlrev_b32_e32 v146, 2, v110
	v_add_co_u32 v110, s0, 0x2eb0, v112
	v_add_co_ci_u32_e64 v111, s0, 0, v113, s0
	v_add_co_u32 v112, s0, 0x2000, v112
	s_delay_alu instid0(VALU_DEP_1) | instskip(SKIP_1) | instid1(VALU_DEP_1)
	v_add_co_ci_u32_e64 v113, s0, 0, v113, s0
	v_add_co_u32 v141, s0, s8, v114
	v_add_co_ci_u32_e64 v237, s0, s9, v115, s0
	v_lshlrev_b64 v[2:3], 4, v[146:147]
	s_waitcnt vmcnt(0)
	v_lshlrev_b32_e32 v146, 2, v7
	v_mul_f64 v[114:115], v[166:167], v[74:75]
	v_mul_f64 v[74:75], v[164:165], v[74:75]
	;; [unrolled: 1-line block ×4, first 2 shown]
	v_fma_f64 v[56:57], v[154:155], v[56:57], v[58:59]
	v_mul_f64 v[58:59], v[168:169], v[82:83]
	v_mul_f64 v[154:155], v[190:191], v[90:91]
	v_fma_f64 v[204:205], v[204:205], v[52:53], -v[222:223]
	v_fma_f64 v[52:53], v[206:207], v[52:53], v[54:55]
	v_mul_f64 v[54:55], v[188:189], v[90:91]
	s_waitcnt lgkmcnt(4)
	v_mul_f64 v[90:91], v[127:128], v[94:95]
	v_mul_f64 v[94:95], v[125:126], v[94:95]
	;; [unrolled: 1-line block ×3, first 2 shown]
	v_fma_f64 v[212:213], v[212:213], v[40:41], -v[229:230]
	v_fma_f64 v[42:43], v[214:215], v[40:41], v[42:43]
	v_add_co_u32 v4, s0, 0x2000, v141
	s_delay_alu instid0(VALU_DEP_1) | instskip(SKIP_1) | instid1(VALU_DEP_1)
	v_add_co_ci_u32_e64 v5, s0, 0, v237, s0
	v_add_co_u32 v0, s0, 0x2eb0, v141
	v_add_co_ci_u32_e64 v1, s0, 0, v237, s0
	v_fma_f64 v[114:115], v[164:165], v[72:73], -v[114:115]
	v_fma_f64 v[72:73], v[166:167], v[72:73], v[74:75]
	v_mul_f64 v[164:165], v[123:124], v[30:31]
	v_fma_f64 v[166:167], v[176:177], v[68:69], -v[231:232]
	v_fma_f64 v[68:69], v[178:179], v[68:69], v[70:71]
	v_mul_f64 v[30:31], v[121:122], v[30:31]
	v_mul_f64 v[70:71], v[194:195], v[26:27]
	;; [unrolled: 1-line block ×3, first 2 shown]
	s_waitcnt lgkmcnt(3)
	v_mul_f64 v[176:177], v[16:17], v[22:23]
	v_fma_f64 v[178:179], v[180:181], v[64:65], -v[233:234]
	v_fma_f64 v[64:65], v[182:183], v[64:65], v[66:67]
	v_mul_f64 v[22:23], v[14:15], v[22:23]
	v_mul_f64 v[66:67], v[202:203], v[34:35]
	;; [unrolled: 1-line block ×8, first 2 shown]
	v_fma_f64 v[160:161], v[160:161], v[48:49], -v[7:8]
	v_fma_f64 v[48:49], v[162:163], v[48:49], v[50:51]
	v_mul_f64 v[50:51], v[196:197], v[98:99]
	s_waitcnt lgkmcnt(2)
	v_mul_f64 v[98:99], v[131:132], v[102:103]
	v_mul_f64 v[102:103], v[129:130], v[102:103]
	;; [unrolled: 1-line block ×4, first 2 shown]
	s_waitcnt lgkmcnt(1)
	v_mul_f64 v[162:163], v[11:12], v[106:107]
	v_mul_f64 v[106:107], v[9:10], v[106:107]
	v_fma_f64 v[58:59], v[170:171], v[80:81], v[58:59]
	v_and_b32_e32 v7, 0xffff, v116
	v_lshlrev_b32_e32 v8, 4, v117
	v_fma_f64 v[54:55], v[190:191], v[88:89], v[54:55]
	v_add_f64 v[190:191], v[220:221], v[184:185]
	v_add_f64 v[229:230], v[52:53], -v[42:43]
	v_add_f64 v[245:246], v[212:213], -v[204:205]
	;; [unrolled: 1-line block ×3, first 2 shown]
	v_mul_u32_u24_e32 v7, 0x2ee0, v7
	v_fma_f64 v[121:122], v[121:122], v[28:29], -v[164:165]
	v_add_f64 v[164:165], v[220:221], -v[184:185]
	s_delay_alu instid0(VALU_DEP_3)
	v_add3_u32 v7, 0, v7, v8
	v_fma_f64 v[28:29], v[123:124], v[28:29], v[30:31]
	v_fma_f64 v[30:31], v[192:193], v[24:25], -v[70:71]
	v_fma_f64 v[24:25], v[194:195], v[24:25], v[26:27]
	v_fma_f64 v[13:14], v[14:15], v[20:21], -v[176:177]
	v_add_f64 v[123:124], v[178:179], -v[114:115]
	v_add_f64 v[170:171], v[114:115], -v[178:179]
	v_fma_f64 v[15:16], v[16:17], v[20:21], v[22:23]
	v_fma_f64 v[20:21], v[200:201], v[32:33], -v[66:67]
	v_fma_f64 v[22:23], v[202:203], v[32:33], v[180:181]
	v_fma_f64 v[26:27], v[156:157], v[44:45], -v[182:183]
	;; [unrolled: 2-line block ×4, first 2 shown]
	v_fma_f64 v[70:71], v[216:217], v[84:85], -v[82:83]
	v_fma_f64 v[76:77], v[218:219], v[84:85], v[86:87]
	v_fma_f64 v[80:81], v[125:126], v[92:93], -v[90:91]
	v_fma_f64 v[82:83], v[129:130], v[100:101], -v[98:99]
	v_fma_f64 v[84:85], v[127:128], v[92:93], v[94:95]
	v_fma_f64 v[86:87], v[131:132], v[100:101], v[102:103]
	v_fma_f64 v[74:75], v[172:173], v[36:37], -v[74:75]
	v_fma_f64 v[116:117], v[174:175], v[36:37], v[38:39]
	v_fma_f64 v[78:79], v[188:189], v[88:89], -v[154:155]
	v_fma_f64 v[88:89], v[196:197], v[96:97], -v[206:207]
	v_fma_f64 v[50:51], v[198:199], v[96:97], v[50:51]
	v_fma_f64 v[9:10], v[9:10], v[104:105], -v[162:163]
	v_fma_f64 v[11:12], v[11:12], v[104:105], v[106:107]
	v_add_f64 v[90:91], v[225:226], v[114:115]
	v_add_f64 v[92:93], v[62:63], v[178:179]
	v_add_f64 v[106:107], v[62:63], -v[225:226]
	v_add_f64 v[125:126], v[144:145], -v[227:228]
	;; [unrolled: 1-line block ×7, first 2 shown]
	v_add_f64 v[158:159], v[148:149], v[166:167]
	v_add_f64 v[162:163], v[150:151], v[68:69]
	v_add_f64 v[168:169], v[225:226], -v[62:63]
	v_add_f64 v[172:173], v[227:228], -v[144:145]
	;; [unrolled: 1-line block ×3, first 2 shown]
	v_add_f64 v[176:177], v[212:213], v[121:122]
	v_add_f64 v[180:181], v[204:205], v[13:14]
	v_add_f64 v[182:183], v[42:43], v[28:29]
	v_add_f64 v[186:187], v[52:53], v[15:16]
	v_add_f64 v[206:207], v[18:19], v[60:61]
	ds_load_b128 v[34:37], v224 offset:2000
	ds_load_b128 v[38:41], v224 offset:4000
	v_add_f64 v[94:95], v[227:228], v[72:73]
	v_add_f64 v[96:97], v[144:145], v[64:65]
	s_waitcnt lgkmcnt(2)
	v_add_f64 v[98:99], v[133:134], v[62:63]
	v_add_f64 v[102:103], v[137:138], v[220:221]
	;; [unrolled: 1-line block ×3, first 2 shown]
	v_add_f64 v[188:189], v[148:149], -v[220:221]
	v_add_f64 v[200:201], v[166:167], -v[184:185]
	v_add_f64 v[192:193], v[70:71], v[80:81]
	v_add_f64 v[194:195], v[44:45], v[82:83]
	;; [unrolled: 1-line block ×4, first 2 shown]
	v_add_f64 v[202:203], v[150:151], -v[18:19]
	v_add_f64 v[208:209], v[68:69], -v[60:61]
	;; [unrolled: 1-line block ×7, first 2 shown]
	s_waitcnt lgkmcnt(1)
	v_add_f64 v[210:211], v[34:35], v[204:205]
	v_add_f64 v[214:215], v[36:37], v[52:53]
	s_waitcnt lgkmcnt(0)
	v_add_f64 v[216:217], v[38:39], v[44:45]
	v_add_f64 v[218:219], v[40:41], v[46:47]
	v_add_f64 v[237:238], v[48:49], -v[116:117]
	v_add_f64 v[239:240], v[22:23], -v[24:25]
	v_add_f64 v[243:244], v[116:117], v[24:25]
	v_add_f64 v[247:248], v[121:122], -v[13:14]
	v_fma_f64 v[90:91], v[90:91], -0.5, v[133:134]
	v_fma_f64 v[92:93], v[92:93], -0.5, v[133:134]
	v_add_f64 v[133:134], v[74:75], -v[160:161]
	v_add_f64 v[106:107], v[106:107], v[123:124]
	v_add_f64 v[123:124], v[44:45], -v[70:71]
	v_add_f64 v[125:126], v[125:126], v[127:128]
	v_fma_f64 v[176:177], v[176:177], -0.5, v[34:35]
	v_fma_f64 v[34:35], v[180:181], -0.5, v[34:35]
	;; [unrolled: 1-line block ×4, first 2 shown]
	v_add_f64 v[182:183], v[30:31], -v[20:21]
	v_add_f64 v[186:187], v[116:117], -v[48:49]
	v_add_f64 v[127:128], v[82:83], -v[80:81]
	v_add_f64 v[129:130], v[129:130], v[131:132]
	v_add_f64 v[131:132], v[46:47], -v[76:77]
	v_add_f64 v[154:155], v[154:155], v[156:157]
	v_add_f64 v[156:157], v[86:87], -v[84:85]
	v_fma_f64 v[162:163], v[162:163], -0.5, v[139:140]
	v_fma_f64 v[139:140], v[206:207], -0.5, v[139:140]
	;; [unrolled: 1-line block ×6, first 2 shown]
	v_add_f64 v[196:197], v[48:49], v[22:23]
	v_add_f64 v[198:199], v[24:25], -v[22:23]
	v_add_f64 v[206:207], v[66:67], -v[78:79]
	v_add_f64 v[168:169], v[168:169], v[170:171]
	v_add_f64 v[170:171], v[9:10], -v[88:89]
	v_add_f64 v[172:173], v[172:173], v[174:175]
	v_add_f64 v[174:175], v[58:59], -v[54:55]
	v_fma_f64 v[158:159], v[158:159], -0.5, v[137:138]
	v_fma_f64 v[137:138], v[190:191], -0.5, v[137:138]
	v_add_f64 v[190:191], v[11:12], -v[50:51]
	v_add_f64 v[100:101], v[135:136], v[144:145]
	v_add_f64 v[241:242], v[74:75], v[30:31]
	v_add_f64 v[251:252], v[28:29], -v[15:16]
	v_fma_f64 v[94:95], v[94:95], -0.5, v[135:136]
	v_fma_f64 v[96:97], v[96:97], -0.5, v[135:136]
	v_add_f64 v[135:136], v[160:161], v[20:21]
	v_add_f64 v[104:105], v[104:105], v[150:151]
	v_add_f64 v[150:151], v[150:151], -v[68:69]
	v_add_f64 v[188:189], v[188:189], v[200:201]
	v_add_f64 v[200:201], v[152:153], v[160:161]
	;; [unrolled: 1-line block ×12, first 2 shown]
	v_fma_f64 v[243:244], v[243:244], -0.5, v[56:57]
	v_add_f64 v[245:246], v[245:246], v[247:248]
	v_add_f64 v[247:248], v[80:81], -v[82:83]
	v_add_f64 v[133:134], v[133:134], v[182:183]
	v_add_f64 v[182:183], v[78:79], -v[66:67]
	v_add_f64 v[123:124], v[123:124], v[127:128]
	v_add_f64 v[127:128], v[58:59], v[11:12]
	;; [unrolled: 1-line block ×3, first 2 shown]
	v_fma_f64 v[56:57], v[196:197], -0.5, v[56:57]
	v_add_f64 v[196:197], v[70:71], -v[44:45]
	v_add_f64 v[186:187], v[186:187], v[198:199]
	v_add_f64 v[198:199], v[66:67], v[9:10]
	v_add_f64 v[156:157], v[88:89], -v[9:10]
	v_add_f64 v[170:171], v[206:207], v[170:171]
	v_add_f64 v[206:207], v[54:55], -v[58:59]
	;; [unrolled: 2-line block ×5, first 2 shown]
	v_add_f64 v[17:18], v[18:19], -v[60:61]
	v_add_f64 v[249:250], v[249:250], v[251:252]
	v_add_f64 v[251:252], v[76:77], -v[46:47]
	v_fma_f64 v[241:242], v[241:242], -0.5, v[152:153]
	v_fma_f64 v[135:136], v[135:136], -0.5, v[152:153]
	v_add_f64 v[152:153], v[84:85], -v[86:87]
	v_add_f64 v[100:101], v[100:101], v[227:228]
	v_add_f64 v[144:145], v[144:145], -v[64:65]
	v_add_f64 v[227:228], v[227:228], -v[72:73]
	v_add_f64 v[62:63], v[62:63], -v[178:179]
	v_add_f64 v[160:161], v[160:161], -v[20:21]
	v_add_f64 v[200:201], v[200:201], v[74:75]
	v_add_f64 v[74:75], v[74:75], -v[30:31]
	v_add_f64 v[48:49], v[48:49], -v[22:23]
	v_add_f64 v[208:209], v[208:209], v[116:117]
	v_add_f64 v[116:117], v[116:117], -v[24:25]
	v_add_f64 v[214:215], v[214:215], v[42:43]
	;; [unrolled: 2-line block ×6, first 2 shown]
	v_add_f64 v[218:219], v[218:219], v[76:77]
	v_add_f64 v[70:71], v[70:71], -v[80:81]
	v_fma_f64 v[235:236], v[235:236], -0.5, v[26:27]
	v_fma_f64 v[239:240], v[239:240], -0.5, v[32:33]
	;; [unrolled: 1-line block ×3, first 2 shown]
	v_add_f64 v[127:128], v[196:197], v[247:248]
	v_fma_f64 v[26:27], v[198:199], -0.5, v[26:27]
	v_add_f64 v[156:157], v[182:183], v[156:157]
	v_add_f64 v[68:69], v[104:105], v[68:69]
	v_fma_f64 v[196:197], v[150:151], s[14:15], v[137:138]
	v_add_f64 v[182:183], v[206:207], v[190:191]
	v_fma_f64 v[206:207], v[225:226], s[12:13], v[96:97]
	v_fma_f64 v[96:97], v[225:226], s[14:15], v[96:97]
	v_fma_f64 v[137:138], v[150:151], s[12:13], v[137:138]
	v_add_f64 v[52:53], v[52:53], -v[15:16]
	v_add_f64 v[212:213], v[212:213], -v[121:122]
	;; [unrolled: 1-line block ×5, first 2 shown]
	v_add_f64 v[152:153], v[251:252], v[152:153]
	v_add_f64 v[98:99], v[98:99], v[114:115]
	;; [unrolled: 1-line block ×4, first 2 shown]
	v_fma_f64 v[102:103], v[164:165], s[14:15], v[162:163]
	v_fma_f64 v[104:105], v[17:18], s[12:13], v[158:159]
	;; [unrolled: 1-line block ×12, first 2 shown]
	v_add_f64 v[121:122], v[210:211], v[121:122]
	v_add_f64 v[28:29], v[214:215], v[28:29]
	;; [unrolled: 1-line block ×7, first 2 shown]
	v_fma_f64 v[200:201], v[160:161], s[14:15], v[243:244]
	v_fma_f64 v[208:209], v[48:49], s[12:13], v[241:242]
	;; [unrolled: 1-line block ×10, first 2 shown]
	v_add_f64 v[60:61], v[68:69], v[60:61]
	v_fma_f64 v[68:69], v[54:55], s[14:15], v[26:27]
	v_fma_f64 v[206:207], v[62:63], s[10:11], v[206:207]
	;; [unrolled: 1-line block ×9, first 2 shown]
	v_add_f64 v[204:205], v[204:205], -v[13:14]
	v_add_f64 v[46:47], v[46:47], -v[86:87]
	v_add_f64 v[50:51], v[231:232], v[50:51]
	v_fma_f64 v[210:211], v[52:53], s[12:13], v[176:177]
	v_fma_f64 v[241:242], v[48:49], s[14:15], v[241:242]
	;; [unrolled: 1-line block ×4, first 2 shown]
	v_add_f64 v[98:99], v[98:99], v[178:179]
	v_add_f64 v[64:65], v[72:73], v[64:65]
	v_fma_f64 v[72:73], v[44:45], s[14:15], v[194:195]
	v_add_f64 v[100:101], v[100:101], v[184:185]
	v_fma_f64 v[184:185], v[78:79], s[12:13], v[32:33]
	v_fma_f64 v[198:199], v[144:145], s[4:5], v[198:199]
	;; [unrolled: 1-line block ×15, first 2 shown]
	v_add_f64 v[121:122], v[121:122], v[13:14]
	v_add_f64 v[28:29], v[28:29], v[15:16]
	;; [unrolled: 1-line block ×4, first 2 shown]
	v_fma_f64 v[13:14], v[74:75], s[10:11], v[200:201]
	v_fma_f64 v[15:16], v[116:117], s[4:5], v[208:209]
	;; [unrolled: 1-line block ×18, first 2 shown]
	v_add_f64 v[80:81], v[80:81], v[82:83]
	v_add_f64 v[82:83], v[84:85], v[86:87]
	;; [unrolled: 1-line block ×4, first 2 shown]
	v_fma_f64 v[135:136], v[78:79], s[10:11], v[247:248]
	v_fma_f64 v[164:165], v[66:67], s[10:11], v[184:185]
	;; [unrolled: 1-line block ×12, first 2 shown]
	v_add_f64 v[9:10], v[98:99], v[100:101]
	v_fma_f64 v[90:91], v[106:107], s[16:17], v[90:91]
	v_fma_f64 v[86:87], v[42:43], s[4:5], v[210:211]
	;; [unrolled: 1-line block ×5, first 2 shown]
	v_add_f64 v[13:14], v[98:99], -v[100:101]
	v_fma_f64 v[98:99], v[106:107], s[16:17], v[114:115]
	v_fma_f64 v[72:73], v[70:71], s[10:11], v[72:73]
	v_add_f64 v[11:12], v[64:65], v[60:61]
	v_fma_f64 v[48:49], v[133:134], s[16:17], v[48:49]
	v_fma_f64 v[52:53], v[186:187], s[16:17], v[52:53]
	;; [unrolled: 1-line block ×3, first 2 shown]
	v_add_f64 v[15:16], v[64:65], -v[60:61]
	v_fma_f64 v[60:61], v[186:187], s[16:17], v[19:20]
	v_fma_f64 v[58:59], v[174:175], s[16:17], v[58:59]
	;; [unrolled: 1-line block ×4, first 2 shown]
	v_mul_f64 v[106:107], v[44:45], s[16:17]
	v_fma_f64 v[162:163], v[76:77], s[4:5], v[178:179]
	v_fma_f64 v[133:134], v[172:173], s[16:17], v[206:207]
	;; [unrolled: 1-line block ×11, first 2 shown]
	v_add_f64 v[17:18], v[121:122], v[30:31]
	v_add_f64 v[19:20], v[28:29], v[23:24]
	v_add_f64 v[21:22], v[121:122], -v[30:31]
	v_add_f64 v[23:24], v[28:29], -v[23:24]
	v_mul_f64 v[172:173], v[144:145], s[14:15]
	v_add_f64 v[25:26], v[80:81], v[84:85]
	v_mul_f64 v[174:175], v[129:130], s[18:19]
	v_mul_f64 v[176:177], v[137:138], s[18:19]
	v_add_f64 v[27:28], v[82:83], v[50:51]
	v_add_f64 v[29:30], v[80:81], -v[84:85]
	v_add_f64 v[31:32], v[82:83], -v[50:51]
	v_fma_f64 v[214:215], v[204:205], s[14:15], v[180:181]
	v_mul_f64 v[121:122], v[139:140], s[4:5]
	v_mul_f64 v[178:179], v[148:149], s[10:11]
	v_fma_f64 v[56:57], v[116:117], s[10:11], v[241:242]
	v_fma_f64 v[74:75], v[74:75], s[4:5], v[243:244]
	;; [unrolled: 1-line block ×4, first 2 shown]
	v_mul_f64 v[50:51], v[48:49], s[16:17]
	v_mul_f64 v[80:81], v[52:53], s[16:17]
	;; [unrolled: 1-line block ×3, first 2 shown]
	v_fma_f64 v[231:232], v[212:213], s[12:13], v[36:37]
	v_fma_f64 v[180:181], v[204:205], s[12:13], v[180:181]
	v_mul_f64 v[198:199], v[58:59], s[18:19]
	v_fma_f64 v[36:37], v[212:213], s[14:15], v[36:37]
	v_mul_f64 v[170:171], v[78:79], s[10:11]
	v_fma_f64 v[106:107], v[46:47], s[12:13], -v[106:107]
	v_mul_f64 v[182:183], v[64:65], s[14:15]
	v_fma_f64 v[76:77], v[76:77], s[10:11], v[192:193]
	v_mul_f64 v[168:169], v[104:105], s[12:13]
	v_fma_f64 v[70:71], v[70:71], s[4:5], v[194:195]
	v_fma_f64 v[82:83], v[220:221], s[16:17], v[86:87]
	v_mul_f64 v[190:191], v[68:69], s[14:15]
	v_mul_f64 v[192:193], v[156:157], s[16:17]
	;; [unrolled: 1-line block ×6, first 2 shown]
	v_fma_f64 v[150:151], v[245:246], s[16:17], v[150:151]
	v_fma_f64 v[162:163], v[123:124], s[16:17], v[162:163]
	;; [unrolled: 1-line block ×4, first 2 shown]
	v_fma_f64 v[137:138], v[137:138], s[4:5], -v[174:175]
	v_fma_f64 v[129:130], v[129:130], s[10:11], -v[176:177]
	v_fma_f64 v[174:175], v[127:128], s[16:17], v[38:39]
	v_fma_f64 v[88:89], v[212:213], s[10:11], v[214:215]
	;; [unrolled: 1-line block ×8, first 2 shown]
	v_fma_f64 v[127:128], v[52:53], s[12:13], -v[50:51]
	v_fma_f64 v[176:177], v[48:49], s[14:15], -v[80:81]
	v_fma_f64 v[135:136], v[135:136], s[18:19], v[186:187]
	v_mul_f64 v[166:167], v[66:67], s[4:5]
	v_fma_f64 v[94:95], v[125:126], s[16:17], v[94:95]
	v_fma_f64 v[186:187], v[54:55], s[10:11], -v[198:199]
	v_mul_f64 v[125:126], v[46:47], s[16:17]
	v_fma_f64 v[158:159], v[204:205], s[10:11], v[231:232]
	v_add_f64 v[49:50], v[92:93], v[106:107]
	v_add_f64 v[53:54], v[92:93], -v[106:107]
	v_add_co_u32 v107, s0, s8, v108
	s_delay_alu instid0(VALU_DEP_1)
	v_add_co_ci_u32_e64 v108, s0, s9, v109, s0
	scratch_load_b32 v109, off, off offset:16 ; 4-byte Folded Reload
	v_fma_f64 v[116:117], v[212:213], s[4:5], v[180:181]
	v_mul_f64 v[180:181], v[60:61], s[12:13]
	v_fma_f64 v[36:37], v[204:205], s[4:5], v[36:37]
	v_fma_f64 v[66:67], v[66:67], s[18:19], v[170:171]
	v_fma_f64 v[144:145], v[144:145], s[16:17], v[168:169]
	v_fma_f64 v[148:149], v[152:153], s[16:17], v[96:97]
	v_fma_f64 v[102:103], v[60:61], s[16:17], v[182:183]
	v_fma_f64 v[170:171], v[220:221], s[16:17], v[42:43]
	v_fma_f64 v[178:179], v[123:124], s[16:17], v[76:77]
	v_fma_f64 v[154:155], v[154:155], s[18:19], v[184:185]
	v_fma_f64 v[182:183], v[68:69], s[16:17], v[188:189]
	v_fma_f64 v[160:161], v[160:161], s[16:17], v[190:191]
	v_fma_f64 v[152:153], v[152:153], s[16:17], v[40:41]
	v_fma_f64 v[164:165], v[164:165], s[12:13], -v[192:193]
	v_fma_f64 v[156:157], v[156:157], s[14:15], -v[194:195]
	;; [unrolled: 1-line block ×3, first 2 shown]
	v_fma_f64 v[84:85], v[229:230], s[16:17], v[88:89]
	v_add_f64 v[47:48], v[133:134], -v[104:105]
	s_waitcnt vmcnt(0)
	s_barrier
	v_mul_f64 v[86:87], v[56:57], s[18:19]
	v_mul_f64 v[88:89], v[74:75], s[18:19]
	buffer_gl0_inv
	v_fma_f64 v[78:79], v[78:79], s[18:19], v[166:167]
	v_fma_f64 v[166:167], v[245:246], s[16:17], v[34:35]
	v_add_f64 v[59:60], v[94:95], v[129:130]
	v_fma_f64 v[125:126], v[44:45], s[14:15], -v[125:126]
	v_fma_f64 v[158:159], v[249:250], s[16:17], v[158:159]
	v_add_f64 v[43:44], v[133:134], v[104:105]
	v_lshlrev_b64 v[105:106], 4, v[146:147]
	v_fma_f64 v[116:117], v[229:230], s[16:17], v[116:117]
	v_fma_f64 v[96:97], v[64:65], s[16:17], v[180:181]
	v_fma_f64 v[168:169], v[249:250], s[16:17], v[36:37]
	v_fma_f64 v[180:181], v[131:132], s[16:17], v[70:71]
	v_add_f64 v[35:36], v[100:101], v[66:67]
	v_add_f64 v[41:42], v[114:115], v[144:145]
	v_add_f64 v[39:40], v[100:101], -v[66:67]
	v_add_f64 v[45:46], v[114:115], -v[144:145]
	v_add_f64 v[65:66], v[82:83], v[72:73]
	v_add_f64 v[69:70], v[82:83], -v[72:73]
	v_add_f64 v[133:134], v[178:179], v[184:185]
	v_add_f64 v[67:68], v[84:85], v[121:122]
	v_add_f64 v[71:72], v[84:85], -v[121:122]
	v_add_f64 v[121:122], v[139:140], -v[182:183]
	v_fma_f64 v[123:124], v[74:75], s[4:5], -v[86:87]
	v_fma_f64 v[131:132], v[56:57], s[10:11], -v[88:89]
	v_add_f64 v[57:58], v[90:91], v[137:138]
	v_add_f64 v[33:34], v[98:99], v[78:79]
	v_add_f64 v[37:38], v[98:99], -v[78:79]
	v_add_f64 v[81:82], v[166:167], v[127:128]
	v_add_f64 v[51:52], v[62:63], v[125:126]
	v_add_f64 v[55:56], v[62:63], -v[125:126]
	v_add_f64 v[61:62], v[90:91], -v[137:138]
	;; [unrolled: 1-line block ×3, first 2 shown]
	v_add_f64 v[75:76], v[158:159], v[102:103]
	v_add_f64 v[79:80], v[158:159], -v[102:103]
	v_add_f64 v[85:86], v[166:167], -v[127:128]
	v_add_f64 v[99:100], v[172:173], v[135:136]
	v_add_f64 v[125:126], v[174:175], v[164:165]
	;; [unrolled: 1-line block ×5, first 2 shown]
	v_add_f64 v[77:78], v[150:151], -v[96:97]
	v_add_f64 v[87:88], v[168:169], -v[176:177]
	v_add_f64 v[97:98], v[162:163], v[154:155]
	v_add_f64 v[103:104], v[172:173], -v[135:136]
	v_add_f64 v[135:136], v[180:181], v[186:187]
	v_add_f64 v[101:102], v[162:163], -v[154:155]
	v_add_f64 v[129:130], v[174:175], -v[164:165]
	v_add_f64 v[150:151], v[180:181], -v[186:187]
	v_add_f64 v[89:90], v[170:171], v[123:124]
	v_add_f64 v[91:92], v[116:117], v[131:132]
	v_add_f64 v[93:94], v[170:171], -v[123:124]
	v_add_f64 v[95:96], v[116:117], -v[131:132]
	v_add_f64 v[115:116], v[139:140], v[182:183]
	v_add_f64 v[117:118], v[148:149], v[160:161]
	v_add_f64 v[123:124], v[148:149], -v[160:161]
	v_add_f64 v[131:132], v[152:153], -v[156:157]
	;; [unrolled: 1-line block ×3, first 2 shown]
	ds_store_b128 v119, v[9:12]
	ds_store_b128 v119, v[33:36] offset:1200
	ds_store_b128 v119, v[41:44] offset:2400
	ds_store_b128 v119, v[49:52] offset:3600
	ds_store_b128 v119, v[57:60] offset:4800
	ds_store_b128 v119, v[13:16] offset:6000
	ds_store_b128 v119, v[37:40] offset:7200
	ds_store_b128 v119, v[45:48] offset:8400
	ds_store_b128 v119, v[53:56] offset:9600
	ds_store_b128 v119, v[61:64] offset:10800
	ds_store_b128 v6, v[17:20]
	ds_store_b128 v6, v[65:68] offset:1200
	ds_store_b128 v6, v[73:76] offset:2400
	ds_store_b128 v6, v[81:84] offset:3600
	ds_store_b128 v6, v[89:92] offset:4800
	ds_store_b128 v6, v[21:24] offset:6000
	ds_store_b128 v6, v[69:72] offset:7200
	ds_store_b128 v6, v[77:80] offset:8400
	ds_store_b128 v6, v[85:88] offset:9600
	ds_store_b128 v6, v[93:96] offset:10800
	;; [unrolled: 10-line block ×3, first 2 shown]
	s_waitcnt lgkmcnt(0)
	s_barrier
	buffer_gl0_inv
	s_clause 0x3
	global_load_b128 v[128:131], v[112:113], off offset:3760
	global_load_b128 v[194:197], v[110:111], off offset:48
	;; [unrolled: 1-line block ×4, first 2 shown]
	v_add_co_u32 v6, s0, 0x2000, v107
	s_delay_alu instid0(VALU_DEP_1) | instskip(SKIP_1) | instid1(VALU_DEP_1)
	v_add_co_ci_u32_e64 v7, s0, 0, v108, s0
	v_add_co_u32 v8, s0, 0x2eb0, v107
	v_add_co_ci_u32_e64 v9, s0, 0, v108, s0
	v_add_co_u32 v10, s0, s8, v2
	s_delay_alu instid0(VALU_DEP_1)
	v_add_co_ci_u32_e64 v11, s0, s9, v3, s0
	s_clause 0x3
	global_load_b128 v[202:205], v[4:5], off offset:3760
	global_load_b128 v[210:213], v[0:1], off offset:16
	;; [unrolled: 1-line block ×4, first 2 shown]
	v_add_co_u32 v12, s0, 0x2000, v10
	s_delay_alu instid0(VALU_DEP_1) | instskip(SKIP_1) | instid1(VALU_DEP_1)
	v_add_co_ci_u32_e64 v13, s0, 0, v11, s0
	v_add_co_u32 v16, s0, 0x2eb0, v10
	v_add_co_ci_u32_e64 v17, s0, 0, v11, s0
	v_add_co_u32 v4, s0, s8, v105
	s_delay_alu instid0(VALU_DEP_1)
	v_add_co_ci_u32_e64 v5, s0, s9, v106, s0
	s_clause 0x3
	global_load_b128 v[136:139], v[6:7], off offset:3760
	global_load_b128 v[32:35], v[8:9], off offset:16
	;; [unrolled: 1-line block ×4, first 2 shown]
	v_add_co_u32 v0, s0, 0x2000, v4
	s_delay_alu instid0(VALU_DEP_1)
	v_add_co_ci_u32_e64 v1, s0, 0, v5, s0
	v_add_co_u32 v44, s0, 0x2eb0, v4
	s_clause 0x1
	global_load_b128 v[24:27], v[12:13], off offset:3760
	global_load_b128 v[12:15], v[16:17], off offset:16
	v_add_co_ci_u32_e64 v45, s0, 0, v5, s0
	s_clause 0x5
	global_load_b128 v[4:7], v[16:17], off offset:48
	global_load_b128 v[36:39], v[16:17], off offset:32
	;; [unrolled: 1-line block ×6, first 2 shown]
	v_lshlrev_b32_e32 v146, 2, v109
	s_delay_alu instid0(VALU_DEP_1) | instskip(NEXT) | instid1(VALU_DEP_1)
	v_lshlrev_b64 v[2:3], 4, v[146:147]
	v_add_co_u32 v2, s0, s8, v2
	s_delay_alu instid0(VALU_DEP_1) | instskip(NEXT) | instid1(VALU_DEP_2)
	v_add_co_ci_u32_e64 v3, s0, s9, v3, s0
	v_add_co_u32 v0, s0, 0x2000, v2
	s_delay_alu instid0(VALU_DEP_1) | instskip(SKIP_1) | instid1(VALU_DEP_1)
	v_add_co_ci_u32_e64 v1, s0, 0, v3, s0
	v_add_co_u32 v2, s0, 0x2eb0, v2
	v_add_co_ci_u32_e64 v3, s0, 0, v3, s0
	s_clause 0x3
	global_load_b128 v[48:51], v[0:1], off offset:3760
	global_load_b128 v[52:55], v[2:3], off offset:16
	;; [unrolled: 1-line block ×4, first 2 shown]
	ds_load_b128 v[148:151], v224 offset:12000
	ds_load_b128 v[178:181], v224 offset:24000
	ds_load_b128 v[186:189], v224 offset:36000
	ds_load_b128 v[0:3], v224 offset:10000
	ds_load_b128 v[72:75], v224 offset:22000
	ds_load_b128 v[64:67], v224 offset:34000
	ds_load_b128 v[198:201], v224 offset:48000
	ds_load_b128 v[68:71], v224 offset:46000
	ds_load_b128 v[206:209], v224 offset:14000
	ds_load_b128 v[229:232], v224 offset:16000
	ds_load_b128 v[214:217], v224 offset:26000
	ds_load_b128 v[100:103], v224 offset:28000
	ds_load_b128 v[233:236], v224 offset:38000
	ds_load_b128 v[104:107], v224 offset:40000
	ds_load_b128 v[237:240], v224 offset:50000
	ds_load_b128 v[112:115], v224 offset:52000
	ds_load_b128 v[108:111], v224 offset:18000
	ds_load_b128 v[80:83], v224 offset:20000
	ds_load_b128 v[116:119], v224 offset:30000
	ds_load_b128 v[88:91], v224 offset:32000
	ds_load_b128 v[120:123], v224 offset:42000
	ds_load_b128 v[92:95], v224 offset:44000
	ds_load_b128 v[124:127], v224 offset:54000
	ds_load_b128 v[96:99], v224 offset:56000
	ds_load_b128 v[84:87], v224 offset:58000
	ds_load_b128 v[76:79], v224
	s_waitcnt vmcnt(23) lgkmcnt(25)
	v_mul_f64 v[140:141], v[150:151], v[130:131]
	v_mul_f64 v[130:131], v[148:149], v[130:131]
	s_waitcnt vmcnt(21) lgkmcnt(24)
	v_mul_f64 v[144:145], v[180:181], v[134:135]
	v_mul_f64 v[134:135], v[178:179], v[134:135]
	;; [unrolled: 3-line block ×3, first 2 shown]
	s_waitcnt lgkmcnt(19)
	v_mul_f64 v[222:223], v[200:201], v[196:197]
	v_mul_f64 v[196:197], v[198:199], v[196:197]
	s_waitcnt vmcnt(19) lgkmcnt(17)
	v_mul_f64 v[241:242], v[208:209], v[204:205]
	v_mul_f64 v[204:205], v[206:207], v[204:205]
	s_waitcnt vmcnt(18) lgkmcnt(15)
	;; [unrolled: 3-line block ×4, first 2 shown]
	v_mul_f64 v[247:248], v[239:240], v[227:228]
	v_mul_f64 v[227:228], v[237:238], v[227:228]
	s_waitcnt vmcnt(15)
	v_mul_f64 v[249:250], v[231:232], v[138:139]
	v_mul_f64 v[138:139], v[229:230], v[138:139]
	s_waitcnt vmcnt(14)
	;; [unrolled: 3-line block ×3, first 2 shown]
	v_mul_f64 v[164:165], v[106:107], v[22:23]
	v_mul_f64 v[166:167], v[104:105], v[22:23]
	s_waitcnt vmcnt(12) lgkmcnt(10)
	v_mul_f64 v[168:169], v[114:115], v[10:11]
	v_mul_f64 v[170:171], v[112:113], v[10:11]
	s_waitcnt vmcnt(11) lgkmcnt(9)
	v_mul_f64 v[172:173], v[110:111], v[26:27]
	v_mul_f64 v[174:175], v[108:109], v[26:27]
	s_waitcnt vmcnt(10) lgkmcnt(7)
	v_mul_f64 v[176:177], v[118:119], v[14:15]
	v_fma_f64 v[152:153], v[148:149], v[128:129], -v[140:141]
	v_fma_f64 v[154:155], v[150:151], v[128:129], v[130:131]
	v_fma_f64 v[150:151], v[178:179], v[132:133], -v[144:145]
	v_fma_f64 v[148:149], v[180:181], v[132:133], v[134:135]
	v_mul_f64 v[178:179], v[116:117], v[14:15]
	s_waitcnt vmcnt(8) lgkmcnt(5)
	v_mul_f64 v[180:181], v[122:123], v[38:39]
	v_mul_f64 v[182:183], v[120:121], v[38:39]
	s_waitcnt lgkmcnt(3)
	v_mul_f64 v[184:185], v[126:127], v[6:7]
	v_fma_f64 v[22:23], v[186:187], v[156:157], -v[190:191]
	v_mul_f64 v[186:187], v[124:125], v[6:7]
	v_fma_f64 v[26:27], v[188:189], v[156:157], v[158:159]
	s_waitcnt vmcnt(7)
	v_mul_f64 v[188:189], v[82:83], v[30:31]
	v_mul_f64 v[190:191], v[80:81], v[30:31]
	s_waitcnt vmcnt(6)
	v_mul_f64 v[192:193], v[90:91], v[18:19]
	v_fma_f64 v[6:7], v[198:199], v[194:195], -v[222:223]
	v_fma_f64 v[10:11], v[200:201], v[194:195], v[196:197]
	v_mul_f64 v[194:195], v[88:89], v[18:19]
	s_waitcnt vmcnt(4)
	v_mul_f64 v[196:197], v[94:95], v[46:47]
	v_mul_f64 v[198:199], v[92:93], v[46:47]
	s_waitcnt lgkmcnt(2)
	v_mul_f64 v[200:201], v[98:99], v[42:43]
	v_fma_f64 v[156:157], v[206:207], v[202:203], -v[241:242]
	v_fma_f64 v[158:159], v[208:209], v[202:203], v[204:205]
	v_mul_f64 v[202:203], v[96:97], v[42:43]
	v_fma_f64 v[42:43], v[214:215], v[210:211], -v[243:244]
	v_fma_f64 v[38:39], v[216:217], v[210:211], v[212:213]
	v_fma_f64 v[30:31], v[233:234], v[218:219], -v[245:246]
	v_fma_f64 v[34:35], v[235:236], v[218:219], v[220:221]
	;; [unrolled: 2-line block ×8, first 2 shown]
	v_fma_f64 v[108:109], v[116:117], v[12:13], -v[176:177]
	ds_load_b128 v[132:135], v224 offset:2000
	ds_load_b128 v[128:131], v224 offset:4000
	v_add_f64 v[140:141], v[150:151], -v[152:153]
	v_fma_f64 v[104:105], v[118:119], v[12:13], v[178:179]
	v_add_f64 v[144:145], v[148:149], -v[154:155]
	ds_load_b128 v[225:228], v224 offset:6000
	ds_load_b128 v[136:139], v224 offset:8000
	v_fma_f64 v[20:21], v[124:125], v[4:5], -v[184:185]
	v_add_f64 v[116:117], v[150:151], v[22:23]
	v_fma_f64 v[24:25], v[126:127], v[4:5], v[186:187]
	v_add_f64 v[118:119], v[148:149], v[26:27]
	v_fma_f64 v[110:111], v[80:81], v[28:29], -v[188:189]
	v_fma_f64 v[114:115], v[82:83], v[28:29], v[190:191]
	v_fma_f64 v[82:83], v[88:89], v[16:17], -v[192:193]
	s_waitcnt lgkmcnt(4)
	v_add_f64 v[124:125], v[76:77], v[152:153]
	v_add_f64 v[28:29], v[154:155], -v[10:11]
	v_fma_f64 v[88:89], v[90:91], v[16:17], v[194:195]
	v_add_f64 v[126:127], v[78:79], v[154:155]
	s_waitcnt vmcnt(0) lgkmcnt(0)
	v_fma_f64 v[12:13], v[96:97], v[40:41], -v[200:201]
	v_add_f64 v[96:97], v[154:155], -v[148:149]
	s_barrier
	v_fma_f64 v[16:17], v[98:99], v[40:41], v[202:203]
	v_add_f64 v[98:99], v[10:11], -v[26:27]
	v_add_f64 v[164:165], v[156:157], -v[42:43]
	v_add_f64 v[172:173], v[42:43], v[30:31]
	v_add_f64 v[174:175], v[38:39], v[34:35]
	;; [unrolled: 1-line block ×4, first 2 shown]
	v_add_f64 v[168:169], v[158:159], -v[38:39]
	v_add_f64 v[184:185], v[30:31], -v[14:15]
	;; [unrolled: 1-line block ×6, first 2 shown]
	v_add_f64 v[200:201], v[220:221], v[32:33]
	v_add_f64 v[202:203], v[222:223], v[46:47]
	v_add_f64 v[190:191], v[32:33], -v[100:101]
	v_add_f64 v[194:195], v[46:47], -v[102:103]
	;; [unrolled: 1-line block ×3, first 2 shown]
	v_add_f64 v[235:236], v[225:226], v[106:107]
	v_add_f64 v[237:238], v[227:228], v[112:113]
	v_add_f64 v[231:232], v[112:113], -v[104:105]
	v_add_f64 v[239:240], v[108:109], -v[106:107]
	;; [unrolled: 1-line block ×3, first 2 shown]
	buffer_gl0_inv
	v_fma_f64 v[116:117], v[116:117], -0.5, v[76:77]
	v_fma_f64 v[118:119], v[118:119], -0.5, v[78:79]
	v_add_f64 v[247:248], v[110:111], -v[82:83]
	v_add_f64 v[124:125], v[124:125], v[150:151]
	v_add_f64 v[126:127], v[126:127], v[148:149]
	;; [unrolled: 1-line block ×3, first 2 shown]
	v_add_f64 v[98:99], v[88:89], -v[114:115]
	v_fma_f64 v[172:173], v[172:173], -0.5, v[132:133]
	v_fma_f64 v[174:175], v[174:175], -0.5, v[134:135]
	v_add_f64 v[164:165], v[164:165], v[166:167]
	v_add_f64 v[188:189], v[188:189], v[190:191]
	v_add_f64 v[192:193], v[192:193], v[194:195]
	v_add_f64 v[168:169], v[168:169], v[170:171]
	v_add_f64 v[235:236], v[235:236], v[108:109]
	v_mul_f64 v[206:207], v[72:73], v[50:51]
	v_mul_f64 v[208:209], v[66:67], v[54:55]
	;; [unrolled: 1-line block ×7, first 2 shown]
	v_fma_f64 v[58:59], v[120:121], v[36:37], -v[180:181]
	v_fma_f64 v[62:63], v[122:123], v[36:37], v[182:183]
	v_mul_f64 v[204:205], v[74:75], v[50:51]
	v_fma_f64 v[50:51], v[92:93], v[44:45], -v[196:197]
	v_fma_f64 v[54:55], v[94:95], v[44:45], v[198:199]
	v_add_f64 v[120:121], v[152:153], v[6:7]
	v_add_f64 v[122:123], v[154:155], v[10:11]
	;; [unrolled: 1-line block ×4, first 2 shown]
	v_add_f64 v[36:37], v[152:153], -v[6:7]
	v_add_f64 v[154:155], v[26:27], -v[10:11]
	v_add_f64 v[180:181], v[132:133], v[156:157]
	v_add_f64 v[182:183], v[134:135], v[158:159]
	v_add_f64 v[94:95], v[6:7], -v[22:23]
	v_fma_f64 v[132:133], v[176:177], -0.5, v[132:133]
	v_fma_f64 v[134:135], v[178:179], -0.5, v[134:135]
	v_fma_f64 v[92:93], v[74:75], v[48:49], v[206:207]
	v_fma_f64 v[74:75], v[64:65], v[52:53], -v[208:209]
	v_fma_f64 v[80:81], v[66:67], v[52:53], v[210:211]
	v_fma_f64 v[40:41], v[68:69], v[60:61], -v[212:213]
	v_add_f64 v[210:211], v[106:107], v[20:21]
	v_add_f64 v[212:213], v[112:113], v[24:25]
	v_fma_f64 v[44:45], v[70:71], v[60:61], v[214:215]
	v_add_f64 v[206:207], v[108:109], v[58:59]
	v_add_f64 v[208:209], v[104:105], v[62:63]
	v_fma_f64 v[90:91], v[72:73], v[48:49], -v[204:205]
	v_fma_f64 v[4:5], v[84:85], v[56:57], -v[216:217]
	v_fma_f64 v[8:9], v[86:87], v[56:57], v[218:219]
	v_add_f64 v[86:87], v[152:153], -v[150:151]
	v_add_f64 v[152:153], v[22:23], -v[6:7]
	;; [unrolled: 1-line block ×6, first 2 shown]
	v_add_f64 v[84:85], v[128:129], v[220:221]
	v_add_f64 v[204:205], v[130:131], v[222:223]
	v_add_f64 v[68:69], v[222:223], -v[46:47]
	v_add_f64 v[70:71], v[220:221], -v[32:33]
	;; [unrolled: 1-line block ×9, first 2 shown]
	v_fma_f64 v[76:77], v[120:121], -0.5, v[76:77]
	v_fma_f64 v[78:79], v[122:123], -0.5, v[78:79]
	v_add_f64 v[120:121], v[114:115], -v[88:89]
	v_add_f64 v[122:123], v[16:17], -v[54:55]
	v_add_f64 v[176:177], v[82:83], v[50:51]
	v_add_f64 v[178:179], v[88:89], v[54:55]
	v_add_f64 v[243:244], v[58:59], -v[20:21]
	v_fma_f64 v[196:197], v[196:197], -0.5, v[128:129]
	v_fma_f64 v[198:199], v[198:199], -0.5, v[130:131]
	;; [unrolled: 1-line block ×4, first 2 shown]
	v_add_f64 v[200:201], v[110:111], v[12:13]
	v_add_f64 v[202:203], v[114:115], v[16:17]
	v_fma_f64 v[210:211], v[210:211], -0.5, v[225:226]
	v_fma_f64 v[212:213], v[212:213], -0.5, v[227:228]
	v_add_f64 v[48:49], v[148:149], -v[26:27]
	v_fma_f64 v[206:207], v[206:207], -0.5, v[225:226]
	v_fma_f64 v[208:209], v[208:209], -0.5, v[227:228]
	v_add_f64 v[225:226], v[136:137], v[110:111]
	v_add_f64 v[227:228], v[138:139], v[114:115]
	v_add_f64 v[64:65], v[38:39], -v[34:35]
	v_add_f64 v[66:67], v[42:43], -v[30:31]
	;; [unrolled: 1-line block ×5, first 2 shown]
	v_add_f64 v[140:141], v[140:141], v[152:153]
	v_add_f64 v[152:153], v[74:75], -v[90:91]
	v_add_f64 v[144:145], v[144:145], v[154:155]
	v_add_f64 v[154:155], v[40:41], -v[4:5]
	v_add_f64 v[42:43], v[180:181], v[42:43]
	v_add_f64 v[180:181], v[90:91], v[4:5]
	;; [unrolled: 1-line block ×10, first 2 shown]
	v_add_f64 v[52:53], v[150:151], -v[22:23]
	v_add_f64 v[72:73], v[162:163], -v[102:103]
	v_add_f64 v[162:163], v[204:205], v[162:163]
	v_add_f64 v[84:85], v[84:85], v[160:161]
	v_add_f64 v[160:161], v[160:161], -v[100:101]
	v_add_f64 v[112:113], v[112:113], -v[24:25]
	;; [unrolled: 1-line block ×3, first 2 shown]
	v_add_f64 v[86:87], v[86:87], v[94:95]
	v_add_f64 v[94:95], v[82:83], -v[110:111]
	v_add_f64 v[150:151], v[50:51], -v[12:13]
	;; [unrolled: 1-line block ×5, first 2 shown]
	v_add_f64 v[214:215], v[214:215], v[218:219]
	v_add_f64 v[218:219], v[92:93], -v[80:81]
	v_add_f64 v[216:217], v[216:217], v[220:221]
	v_add_f64 v[220:221], v[4:5], -v[40:41]
	v_add_f64 v[222:223], v[222:223], v[229:230]
	v_add_f64 v[229:230], v[8:9], -v[44:45]
	v_add_f64 v[231:232], v[231:232], v[233:234]
	v_add_f64 v[233:234], v[104:105], -v[62:63]
	v_add_f64 v[108:109], v[108:109], -v[58:59]
	v_add_f64 v[114:115], v[114:115], -v[16:17]
	v_add_f64 v[104:105], v[237:238], v[104:105]
	v_add_f64 v[110:111], v[110:111], -v[12:13]
	v_add_f64 v[120:121], v[120:121], v[122:123]
	v_fma_f64 v[122:123], v[176:177], -0.5, v[136:137]
	v_fma_f64 v[176:177], v[178:179], -0.5, v[138:139]
	v_add_f64 v[237:238], v[88:89], -v[54:55]
	v_add_f64 v[239:240], v[239:240], v[243:244]
	v_add_f64 v[243:244], v[82:83], -v[50:51]
	v_fma_f64 v[136:137], v[200:201], -0.5, v[136:137]
	v_fma_f64 v[138:139], v[202:203], -0.5, v[138:139]
	v_add_f64 v[82:83], v[225:226], v[82:83]
	v_add_f64 v[88:89], v[227:228], v[88:89]
	;; [unrolled: 1-line block ×3, first 2 shown]
	v_add_f64 v[245:246], v[80:81], -v[44:45]
	v_add_f64 v[92:93], v[92:93], -v[8:9]
	v_add_f64 v[247:248], v[247:248], v[249:250]
	v_add_f64 v[249:250], v[74:75], -v[40:41]
	v_add_f64 v[90:91], v[90:91], -v[4:5]
	v_add_f64 v[98:99], v[98:99], v[148:149]
	v_add_f64 v[148:149], v[152:153], v[154:155]
	v_fma_f64 v[152:153], v[180:181], -0.5, v[0:1]
	v_fma_f64 v[154:155], v[182:183], -0.5, v[2:3]
	v_fma_f64 v[0:1], v[184:185], -0.5, v[0:1]
	v_fma_f64 v[2:3], v[186:187], -0.5, v[2:3]
	v_add_f64 v[74:75], v[190:191], v[74:75]
	v_add_f64 v[80:81], v[194:195], v[80:81]
	v_fma_f64 v[178:179], v[28:29], s[12:13], v[116:117]
	v_fma_f64 v[180:181], v[36:37], s[14:15], v[118:119]
	v_fma_f64 v[116:117], v[28:29], s[14:15], v[116:117]
	v_fma_f64 v[118:119], v[36:37], s[12:13], v[118:119]
	v_add_f64 v[22:23], v[124:125], v[22:23]
	v_add_f64 v[26:27], v[126:127], v[26:27]
	v_fma_f64 v[124:125], v[48:49], s[14:15], v[76:77]
	v_fma_f64 v[76:77], v[48:49], s[12:13], v[76:77]
	;; [unrolled: 1-line block ×8, first 2 shown]
	v_add_f64 v[30:31], v[42:43], v[30:31]
	v_add_f64 v[34:35], v[38:39], v[34:35]
	v_fma_f64 v[38:39], v[64:65], s[14:15], v[132:133]
	v_fma_f64 v[42:43], v[64:65], s[12:13], v[132:133]
	;; [unrolled: 1-line block ×6, first 2 shown]
	v_add_f64 v[84:85], v[84:85], v[100:101]
	v_add_f64 v[100:101], v[162:163], v[102:103]
	v_fma_f64 v[102:103], v[72:73], s[14:15], v[128:129]
	v_fma_f64 v[162:163], v[160:161], s[12:13], v[130:131]
	;; [unrolled: 1-line block ×8, first 2 shown]
	v_add_f64 v[94:95], v[94:95], v[150:151]
	v_add_f64 v[150:151], v[166:167], v[170:171]
	;; [unrolled: 1-line block ×4, first 2 shown]
	v_fma_f64 v[202:203], v[112:113], s[14:15], v[206:207]
	v_fma_f64 v[204:205], v[106:107], s[12:13], v[208:209]
	v_add_f64 v[62:63], v[104:105], v[62:63]
	v_fma_f64 v[104:105], v[233:234], s[14:15], v[210:211]
	v_fma_f64 v[206:207], v[233:234], s[12:13], v[210:211]
	;; [unrolled: 1-line block ×6, first 2 shown]
	v_add_f64 v[50:51], v[82:83], v[50:51]
	v_add_f64 v[54:55], v[88:89], v[54:55]
	v_fma_f64 v[82:83], v[237:238], s[14:15], v[136:137]
	v_fma_f64 v[88:89], v[237:238], s[12:13], v[136:137]
	;; [unrolled: 1-line block ×6, first 2 shown]
	v_add_f64 v[40:41], v[74:75], v[40:41]
	v_add_f64 v[44:45], v[80:81], v[44:45]
	v_fma_f64 v[74:75], v[92:93], s[12:13], v[0:1]
	v_fma_f64 v[227:228], v[90:91], s[14:15], v[2:3]
	;; [unrolled: 1-line block ×8, first 2 shown]
	v_add_f64 v[58:59], v[235:236], v[58:59]
	v_fma_f64 v[178:179], v[48:49], s[4:5], v[178:179]
	v_fma_f64 v[180:181], v[52:53], s[10:11], v[180:181]
	;; [unrolled: 1-line block ×18, first 2 shown]
	v_add_f64 v[2:3], v[26:27], v[10:11]
	v_add_f64 v[26:27], v[30:31], v[14:15]
	;; [unrolled: 1-line block ×4, first 2 shown]
	v_fma_f64 v[84:85], v[68:69], s[4:5], v[102:103]
	v_fma_f64 v[100:101], v[70:71], s[10:11], v[162:163]
	;; [unrolled: 1-line block ×22, first 2 shown]
	v_add_f64 v[0:1], v[22:23], v[6:7]
	v_add_f64 v[6:7], v[44:45], v[8:9]
	v_fma_f64 v[8:9], v[245:246], s[4:5], v[74:75]
	v_fma_f64 v[196:197], v[249:250], s[10:11], v[227:228]
	;; [unrolled: 1-line block ×8, first 2 shown]
	v_add_f64 v[28:29], v[34:35], v[18:19]
	v_add_f64 v[18:19], v[58:59], v[20:21]
	;; [unrolled: 1-line block ×6, first 2 shown]
	v_fma_f64 v[38:39], v[164:165], s[16:17], v[78:79]
	v_fma_f64 v[40:41], v[168:169], s[16:17], v[126:127]
	v_fma_f64 v[50:51], v[156:157], s[16:17], v[56:57]
	v_fma_f64 v[54:55], v[188:189], s[16:17], v[134:135]
	v_fma_f64 v[56:57], v[192:193], s[16:17], v[174:175]
	v_fma_f64 v[22:23], v[86:87], s[16:17], v[48:49]
	v_fma_f64 v[46:47], v[156:157], s[16:17], v[172:173]
	v_fma_f64 v[48:49], v[158:159], s[16:17], v[132:133]
	v_fma_f64 v[42:43], v[164:165], s[16:17], v[64:65]
	v_fma_f64 v[62:63], v[214:215], s[16:17], v[84:85]
	v_fma_f64 v[64:65], v[216:217], s[16:17], v[100:101]
	v_fma_f64 v[24:25], v[96:97], s[16:17], v[52:53]
	v_fma_f64 v[52:53], v[158:159], s[16:17], v[60:61]
	v_fma_f64 v[44:45], v[168:169], s[16:17], v[66:67]
	v_fma_f64 v[66:67], v[214:215], s[16:17], v[68:69]
	v_fma_f64 v[68:69], v[216:217], s[16:17], v[70:71]
	v_fma_f64 v[58:59], v[188:189], s[16:17], v[72:73]
	v_fma_f64 v[60:61], v[192:193], s[16:17], v[160:161]
	v_fma_f64 v[70:71], v[222:223], s[16:17], v[102:103]
	v_fma_f64 v[72:73], v[231:232], s[16:17], v[128:129]
	v_fma_f64 v[14:15], v[86:87], s[16:17], v[178:179]
	v_fma_f64 v[86:87], v[247:248], s[16:17], v[182:183]
	v_fma_f64 v[88:89], v[120:121], s[16:17], v[184:185]
	v_fma_f64 v[78:79], v[239:240], s[16:17], v[104:105]
	v_fma_f64 v[80:81], v[241:242], s[16:17], v[162:163]
	v_fma_f64 v[90:91], v[94:95], s[16:17], v[186:187]
	v_fma_f64 v[92:93], v[98:99], s[16:17], v[136:137]
	v_fma_f64 v[82:83], v[239:240], s[16:17], v[112:113]
	v_fma_f64 v[84:85], v[241:242], s[16:17], v[106:107]
	v_fma_f64 v[16:17], v[96:97], s[16:17], v[180:181]
	v_fma_f64 v[94:95], v[94:95], s[16:17], v[114:115]
	v_fma_f64 v[96:97], v[98:99], s[16:17], v[110:111]
	v_fma_f64 v[36:37], v[144:145], s[16:17], v[76:77]
	v_fma_f64 v[74:75], v[222:223], s[16:17], v[130:131]
	v_fma_f64 v[76:77], v[231:232], s[16:17], v[108:109]
	v_fma_f64 v[98:99], v[247:248], s[16:17], v[122:123]
	v_fma_f64 v[100:101], v[120:121], s[16:17], v[176:177]
	v_fma_f64 v[34:35], v[140:141], s[16:17], v[116:117]
	v_fma_f64 v[106:107], v[166:167], s[16:17], v[8:9]
	v_fma_f64 v[108:109], v[170:171], s[16:17], v[196:197]
	v_fma_f64 v[102:103], v[140:141], s[16:17], v[118:119]
	v_fma_f64 v[104:105], v[144:145], s[16:17], v[124:125]
	v_fma_f64 v[110:111], v[148:149], s[16:17], v[138:139]
	v_fma_f64 v[112:113], v[150:151], s[16:17], v[190:191]
	v_fma_f64 v[114:115], v[148:149], s[16:17], v[152:153]
	v_fma_f64 v[116:117], v[150:151], s[16:17], v[154:155]
	v_fma_f64 v[118:119], v[166:167], s[16:17], v[194:195]
	v_fma_f64 v[120:121], v[170:171], s[16:17], v[198:199]
	ds_store_b128 v224, v[26:29] offset:2000
	ds_store_b128 v224, v[30:33] offset:4000
	;; [unrolled: 1-line block ×28, first 2 shown]
	ds_store_b128 v224, v[0:3]
	ds_store_b128 v224, v[118:121] offset:58000
	s_waitcnt lgkmcnt(0)
	s_barrier
	buffer_gl0_inv
	s_and_saveexec_b32 s0, vcc_lo
	s_cbranch_execz .LBB0_21
; %bb.20:
	scratch_load_b64 v[2:3], off, off       ; 8-byte Folded Reload
	v_mov_b32_e32 v254, v147
	v_lshlrev_b64 v[12:13], 4, v[142:143]
	v_add_nc_u32_e32 v146, 0x7d, v253
	v_lshl_add_u32 v32, v253, 4, 0
	s_delay_alu instid0(VALU_DEP_4) | instskip(NEXT) | instid1(VALU_DEP_3)
	v_lshlrev_b64 v[14:15], 4, v[253:254]
	v_lshlrev_b64 v[18:19], 4, v[146:147]
	v_add_nc_u32_e32 v146, 0xfa, v253
	s_waitcnt vmcnt(0)
	v_mul_lo_u32 v0, s3, v2
	v_mul_lo_u32 v1, s2, v3
	v_mad_u64_u32 v[4:5], null, s2, v2, 0
	s_delay_alu instid0(VALU_DEP_1)
	v_add3_u32 v5, v5, v1, v0
	ds_load_b128 v[0:3], v32
	v_lshlrev_b64 v[16:17], 4, v[4:5]
	ds_load_b128 v[4:7], v32 offset:2000
	ds_load_b128 v[8:11], v32 offset:4000
	v_add_co_u32 v20, vcc_lo, s6, v16
	v_add_co_ci_u32_e32 v21, vcc_lo, s7, v17, vcc_lo
	v_lshlrev_b64 v[16:17], 4, v[146:147]
	s_delay_alu instid0(VALU_DEP_3) | instskip(NEXT) | instid1(VALU_DEP_3)
	v_add_co_u32 v36, vcc_lo, v20, v12
	v_add_co_ci_u32_e32 v37, vcc_lo, v21, v13, vcc_lo
	v_add_nc_u32_e32 v146, 0x177, v253
	s_delay_alu instid0(VALU_DEP_3) | instskip(NEXT) | instid1(VALU_DEP_3)
	v_add_co_u32 v20, vcc_lo, v36, v14
	v_add_co_ci_u32_e32 v21, vcc_lo, v37, v15, vcc_lo
	ds_load_b128 v[12:15], v32 offset:6000
	v_add_co_u32 v22, vcc_lo, v36, v18
	v_add_co_ci_u32_e32 v23, vcc_lo, v37, v19, vcc_lo
	v_lshlrev_b64 v[18:19], 4, v[146:147]
	v_add_nc_u32_e32 v146, 0x1f4, v253
	v_add_co_u32 v24, vcc_lo, v36, v16
	v_add_co_ci_u32_e32 v25, vcc_lo, v37, v17, vcc_lo
	s_delay_alu instid0(VALU_DEP_4) | instskip(NEXT) | instid1(VALU_DEP_4)
	v_add_co_u32 v26, vcc_lo, v36, v18
	v_lshlrev_b64 v[28:29], 4, v[146:147]
	v_add_nc_u32_e32 v146, 0x271, v253
	v_add_co_ci_u32_e32 v27, vcc_lo, v37, v19, vcc_lo
	ds_load_b128 v[16:19], v32 offset:58000
	s_waitcnt lgkmcnt(4)
	global_store_b128 v[20:21], v[0:3], off
	s_waitcnt lgkmcnt(3)
	global_store_b128 v[22:23], v[4:7], off
	v_lshlrev_b64 v[20:21], 4, v[146:147]
	v_add_nc_u32_e32 v146, 0x2ee, v253
	ds_load_b128 v[0:3], v32 offset:8000
	s_waitcnt lgkmcnt(3)
	global_store_b128 v[24:25], v[8:11], off
	s_waitcnt lgkmcnt(2)
	global_store_b128 v[26:27], v[12:15], off
	ds_load_b128 v[4:7], v32 offset:10000
	ds_load_b128 v[8:11], v32 offset:12000
	;; [unrolled: 1-line block ×3, first 2 shown]
	v_lshlrev_b64 v[24:25], 4, v[146:147]
	v_add_nc_u32_e32 v146, 0x36b, v253
	v_add_co_u32 v22, vcc_lo, v36, v28
	v_add_co_ci_u32_e32 v23, vcc_lo, v37, v29, vcc_lo
	v_add_co_u32 v20, vcc_lo, v36, v20
	s_delay_alu instid0(VALU_DEP_4)
	v_lshlrev_b64 v[26:27], 4, v[146:147]
	v_add_nc_u32_e32 v146, 0x3e8, v253
	v_add_co_ci_u32_e32 v21, vcc_lo, v37, v21, vcc_lo
	v_add_co_u32 v24, vcc_lo, v36, v24
	v_add_co_ci_u32_e32 v25, vcc_lo, v37, v25, vcc_lo
	v_add_co_u32 v26, vcc_lo, v36, v26
	v_lshlrev_b64 v[28:29], 4, v[146:147]
	v_add_nc_u32_e32 v146, 0x465, v253
	v_add_co_ci_u32_e32 v27, vcc_lo, v37, v27, vcc_lo
	s_waitcnt lgkmcnt(3)
	global_store_b128 v[22:23], v[0:3], off
	s_waitcnt lgkmcnt(2)
	global_store_b128 v[20:21], v[4:7], off
	ds_load_b128 v[0:3], v32 offset:16000
	v_lshlrev_b64 v[20:21], 4, v[146:147]
	v_add_nc_u32_e32 v146, 0x4e2, v253
	s_waitcnt lgkmcnt(2)
	global_store_b128 v[24:25], v[8:11], off
	s_waitcnt lgkmcnt(1)
	global_store_b128 v[26:27], v[12:15], off
	ds_load_b128 v[4:7], v32 offset:18000
	ds_load_b128 v[8:11], v32 offset:20000
	ds_load_b128 v[12:15], v32 offset:22000
	v_add_co_u32 v22, vcc_lo, v36, v28
	v_lshlrev_b64 v[24:25], 4, v[146:147]
	v_add_nc_u32_e32 v146, 0x55f, v253
	v_add_co_ci_u32_e32 v23, vcc_lo, v37, v29, vcc_lo
	v_add_co_u32 v20, vcc_lo, v36, v20
	s_delay_alu instid0(VALU_DEP_3)
	v_lshlrev_b64 v[26:27], 4, v[146:147]
	v_add_nc_u32_e32 v146, 0x5dc, v253
	v_add_co_ci_u32_e32 v21, vcc_lo, v37, v21, vcc_lo
	v_add_co_u32 v24, vcc_lo, v36, v24
	v_add_co_ci_u32_e32 v25, vcc_lo, v37, v25, vcc_lo
	v_add_co_u32 v26, vcc_lo, v36, v26
	v_lshlrev_b64 v[28:29], 4, v[146:147]
	v_add_nc_u32_e32 v146, 0x659, v253
	v_add_co_ci_u32_e32 v27, vcc_lo, v37, v27, vcc_lo
	s_waitcnt lgkmcnt(3)
	global_store_b128 v[22:23], v[0:3], off
	s_waitcnt lgkmcnt(2)
	global_store_b128 v[20:21], v[4:7], off
	ds_load_b128 v[0:3], v32 offset:24000
	v_lshlrev_b64 v[20:21], 4, v[146:147]
	v_add_nc_u32_e32 v146, 0x6d6, v253
	s_waitcnt lgkmcnt(2)
	global_store_b128 v[24:25], v[8:11], off
	s_waitcnt lgkmcnt(1)
	global_store_b128 v[26:27], v[12:15], off
	ds_load_b128 v[4:7], v32 offset:26000
	ds_load_b128 v[8:11], v32 offset:28000
	ds_load_b128 v[12:15], v32 offset:30000
	v_add_co_u32 v22, vcc_lo, v36, v28
	v_lshlrev_b64 v[24:25], 4, v[146:147]
	v_add_nc_u32_e32 v146, 0x753, v253
	v_add_co_ci_u32_e32 v23, vcc_lo, v37, v29, vcc_lo
	v_add_co_u32 v20, vcc_lo, v36, v20
	s_delay_alu instid0(VALU_DEP_3)
	;; [unrolled: 29-line block ×3, first 2 shown]
	v_lshlrev_b64 v[26:27], 4, v[146:147]
	v_add_co_ci_u32_e32 v21, vcc_lo, v37, v21, vcc_lo
	v_add_nc_u32_e32 v146, 0x9c4, v253
	v_add_co_u32 v24, vcc_lo, v36, v24
	v_add_co_ci_u32_e32 v25, vcc_lo, v37, v25, vcc_lo
	v_add_co_u32 v26, vcc_lo, v36, v26
	s_delay_alu instid0(VALU_DEP_4)
	v_lshlrev_b64 v[28:29], 4, v[146:147]
	v_add_nc_u32_e32 v146, 0xa41, v253
	v_add_co_ci_u32_e32 v27, vcc_lo, v37, v27, vcc_lo
	s_waitcnt lgkmcnt(3)
	global_store_b128 v[22:23], v[0:3], off
	s_waitcnt lgkmcnt(2)
	global_store_b128 v[20:21], v[4:7], off
	ds_load_b128 v[0:3], v32 offset:40000
	s_waitcnt lgkmcnt(2)
	global_store_b128 v[24:25], v[8:11], off
	s_waitcnt lgkmcnt(1)
	global_store_b128 v[26:27], v[12:15], off
	v_lshlrev_b64 v[20:21], 4, v[146:147]
	v_add_nc_u32_e32 v146, 0xabe, v253
	ds_load_b128 v[4:7], v32 offset:42000
	ds_load_b128 v[8:11], v32 offset:44000
	;; [unrolled: 1-line block ×3, first 2 shown]
	v_add_co_u32 v22, vcc_lo, v36, v28
	v_lshlrev_b64 v[24:25], 4, v[146:147]
	v_add_nc_u32_e32 v146, 0xb3b, v253
	v_add_co_ci_u32_e32 v23, vcc_lo, v37, v29, vcc_lo
	v_add_co_u32 v20, vcc_lo, v36, v20
	s_delay_alu instid0(VALU_DEP_3) | instskip(SKIP_3) | instid1(VALU_DEP_3)
	v_lshlrev_b64 v[26:27], 4, v[146:147]
	v_add_nc_u32_e32 v146, 0xbb8, v253
	v_add_co_ci_u32_e32 v21, vcc_lo, v37, v21, vcc_lo
	v_add_co_u32 v24, vcc_lo, v36, v24
	v_lshlrev_b64 v[28:29], 4, v[146:147]
	v_add_nc_u32_e32 v146, 0xc35, v253
	v_add_co_ci_u32_e32 v25, vcc_lo, v37, v25, vcc_lo
	v_add_co_u32 v26, vcc_lo, v36, v26
	s_waitcnt lgkmcnt(3)
	global_store_b128 v[22:23], v[0:3], off
	s_waitcnt lgkmcnt(2)
	global_store_b128 v[20:21], v[4:7], off
	v_lshlrev_b64 v[4:5], 4, v[146:147]
	v_add_nc_u32_e32 v146, 0xcb2, v253
	v_add_co_ci_u32_e32 v27, vcc_lo, v37, v27, vcc_lo
	ds_load_b128 v[0:3], v32 offset:48000
	s_waitcnt lgkmcnt(2)
	global_store_b128 v[24:25], v[8:11], off
	s_waitcnt lgkmcnt(1)
	global_store_b128 v[26:27], v[12:15], off
	v_add_co_u32 v24, vcc_lo, v36, v28
	v_lshlrev_b64 v[12:13], 4, v[146:147]
	v_add_co_ci_u32_e32 v25, vcc_lo, v37, v29, vcc_lo
	v_add_co_u32 v26, vcc_lo, v36, v4
	v_add_nc_u32_e32 v146, 0xd2f, v253
	v_add_co_ci_u32_e32 v27, vcc_lo, v37, v5, vcc_lo
	v_add_co_u32 v30, vcc_lo, v36, v12
	ds_load_b128 v[4:7], v32 offset:50000
	ds_load_b128 v[8:11], v32 offset:52000
	v_add_co_ci_u32_e32 v31, vcc_lo, v37, v13, vcc_lo
	ds_load_b128 v[12:15], v32 offset:54000
	ds_load_b128 v[20:23], v32 offset:56000
	v_lshlrev_b64 v[28:29], 4, v[146:147]
	v_add_nc_u32_e32 v146, 0xdac, v253
	s_delay_alu instid0(VALU_DEP_1) | instskip(SKIP_1) | instid1(VALU_DEP_4)
	v_lshlrev_b64 v[32:33], 4, v[146:147]
	v_add_nc_u32_e32 v146, 0xe29, v253
	v_add_co_u32 v28, vcc_lo, v36, v28
	v_add_co_ci_u32_e32 v29, vcc_lo, v37, v29, vcc_lo
	s_delay_alu instid0(VALU_DEP_3) | instskip(SKIP_2) | instid1(VALU_DEP_3)
	v_lshlrev_b64 v[34:35], 4, v[146:147]
	v_add_co_u32 v32, vcc_lo, v36, v32
	v_add_co_ci_u32_e32 v33, vcc_lo, v37, v33, vcc_lo
	v_add_co_u32 v34, vcc_lo, v36, v34
	s_delay_alu instid0(VALU_DEP_4)
	v_add_co_ci_u32_e32 v35, vcc_lo, v37, v35, vcc_lo
	s_waitcnt lgkmcnt(4)
	global_store_b128 v[24:25], v[0:3], off
	s_waitcnt lgkmcnt(3)
	global_store_b128 v[26:27], v[4:7], off
	;; [unrolled: 2-line block ×4, first 2 shown]
	s_waitcnt lgkmcnt(0)
	s_clause 0x1
	global_store_b128 v[32:33], v[20:23], off
	global_store_b128 v[34:35], v[16:19], off
.LBB0_21:
	s_nop 0
	s_sendmsg sendmsg(MSG_DEALLOC_VGPRS)
	s_endpgm
	.section	.rodata,"a",@progbits
	.p2align	6, 0x0
	.amdhsa_kernel fft_rtc_fwd_len3750_factors_3_5_5_10_5_wgs_125_tpt_125_halfLds_dp_op_CI_CI_unitstride_sbrr_C2R_dirReg
		.amdhsa_group_segment_fixed_size 0
		.amdhsa_private_segment_fixed_size 76
		.amdhsa_kernarg_size 104
		.amdhsa_user_sgpr_count 15
		.amdhsa_user_sgpr_dispatch_ptr 0
		.amdhsa_user_sgpr_queue_ptr 0
		.amdhsa_user_sgpr_kernarg_segment_ptr 1
		.amdhsa_user_sgpr_dispatch_id 0
		.amdhsa_user_sgpr_private_segment_size 0
		.amdhsa_wavefront_size32 1
		.amdhsa_uses_dynamic_stack 0
		.amdhsa_enable_private_segment 1
		.amdhsa_system_sgpr_workgroup_id_x 1
		.amdhsa_system_sgpr_workgroup_id_y 0
		.amdhsa_system_sgpr_workgroup_id_z 0
		.amdhsa_system_sgpr_workgroup_info 0
		.amdhsa_system_vgpr_workitem_id 0
		.amdhsa_next_free_vgpr 256
		.amdhsa_next_free_sgpr 27
		.amdhsa_reserve_vcc 1
		.amdhsa_float_round_mode_32 0
		.amdhsa_float_round_mode_16_64 0
		.amdhsa_float_denorm_mode_32 3
		.amdhsa_float_denorm_mode_16_64 3
		.amdhsa_dx10_clamp 1
		.amdhsa_ieee_mode 1
		.amdhsa_fp16_overflow 0
		.amdhsa_workgroup_processor_mode 1
		.amdhsa_memory_ordered 1
		.amdhsa_forward_progress 0
		.amdhsa_shared_vgpr_count 0
		.amdhsa_exception_fp_ieee_invalid_op 0
		.amdhsa_exception_fp_denorm_src 0
		.amdhsa_exception_fp_ieee_div_zero 0
		.amdhsa_exception_fp_ieee_overflow 0
		.amdhsa_exception_fp_ieee_underflow 0
		.amdhsa_exception_fp_ieee_inexact 0
		.amdhsa_exception_int_div_zero 0
	.end_amdhsa_kernel
	.text
.Lfunc_end0:
	.size	fft_rtc_fwd_len3750_factors_3_5_5_10_5_wgs_125_tpt_125_halfLds_dp_op_CI_CI_unitstride_sbrr_C2R_dirReg, .Lfunc_end0-fft_rtc_fwd_len3750_factors_3_5_5_10_5_wgs_125_tpt_125_halfLds_dp_op_CI_CI_unitstride_sbrr_C2R_dirReg
                                        ; -- End function
	.section	.AMDGPU.csdata,"",@progbits
; Kernel info:
; codeLenInByte = 28960
; NumSgprs: 29
; NumVgprs: 256
; ScratchSize: 76
; MemoryBound: 0
; FloatMode: 240
; IeeeMode: 1
; LDSByteSize: 0 bytes/workgroup (compile time only)
; SGPRBlocks: 3
; VGPRBlocks: 31
; NumSGPRsForWavesPerEU: 29
; NumVGPRsForWavesPerEU: 256
; Occupancy: 5
; WaveLimiterHint : 1
; COMPUTE_PGM_RSRC2:SCRATCH_EN: 1
; COMPUTE_PGM_RSRC2:USER_SGPR: 15
; COMPUTE_PGM_RSRC2:TRAP_HANDLER: 0
; COMPUTE_PGM_RSRC2:TGID_X_EN: 1
; COMPUTE_PGM_RSRC2:TGID_Y_EN: 0
; COMPUTE_PGM_RSRC2:TGID_Z_EN: 0
; COMPUTE_PGM_RSRC2:TIDIG_COMP_CNT: 0
	.text
	.p2alignl 7, 3214868480
	.fill 96, 4, 3214868480
	.type	__hip_cuid_22aa8186e00da0cf,@object ; @__hip_cuid_22aa8186e00da0cf
	.section	.bss,"aw",@nobits
	.globl	__hip_cuid_22aa8186e00da0cf
__hip_cuid_22aa8186e00da0cf:
	.byte	0                               ; 0x0
	.size	__hip_cuid_22aa8186e00da0cf, 1

	.ident	"AMD clang version 19.0.0git (https://github.com/RadeonOpenCompute/llvm-project roc-6.4.0 25133 c7fe45cf4b819c5991fe208aaa96edf142730f1d)"
	.section	".note.GNU-stack","",@progbits
	.addrsig
	.addrsig_sym __hip_cuid_22aa8186e00da0cf
	.amdgpu_metadata
---
amdhsa.kernels:
  - .args:
      - .actual_access:  read_only
        .address_space:  global
        .offset:         0
        .size:           8
        .value_kind:     global_buffer
      - .offset:         8
        .size:           8
        .value_kind:     by_value
      - .actual_access:  read_only
        .address_space:  global
        .offset:         16
        .size:           8
        .value_kind:     global_buffer
      - .actual_access:  read_only
        .address_space:  global
        .offset:         24
        .size:           8
        .value_kind:     global_buffer
      - .actual_access:  read_only
        .address_space:  global
        .offset:         32
        .size:           8
        .value_kind:     global_buffer
      - .offset:         40
        .size:           8
        .value_kind:     by_value
      - .actual_access:  read_only
        .address_space:  global
        .offset:         48
        .size:           8
        .value_kind:     global_buffer
      - .actual_access:  read_only
        .address_space:  global
        .offset:         56
        .size:           8
        .value_kind:     global_buffer
      - .offset:         64
        .size:           4
        .value_kind:     by_value
      - .actual_access:  read_only
        .address_space:  global
        .offset:         72
        .size:           8
        .value_kind:     global_buffer
      - .actual_access:  read_only
        .address_space:  global
        .offset:         80
        .size:           8
        .value_kind:     global_buffer
      - .actual_access:  read_only
        .address_space:  global
        .offset:         88
        .size:           8
        .value_kind:     global_buffer
      - .actual_access:  write_only
        .address_space:  global
        .offset:         96
        .size:           8
        .value_kind:     global_buffer
    .group_segment_fixed_size: 0
    .kernarg_segment_align: 8
    .kernarg_segment_size: 104
    .language:       OpenCL C
    .language_version:
      - 2
      - 0
    .max_flat_workgroup_size: 125
    .name:           fft_rtc_fwd_len3750_factors_3_5_5_10_5_wgs_125_tpt_125_halfLds_dp_op_CI_CI_unitstride_sbrr_C2R_dirReg
    .private_segment_fixed_size: 76
    .sgpr_count:     29
    .sgpr_spill_count: 0
    .symbol:         fft_rtc_fwd_len3750_factors_3_5_5_10_5_wgs_125_tpt_125_halfLds_dp_op_CI_CI_unitstride_sbrr_C2R_dirReg.kd
    .uniform_work_group_size: 1
    .uses_dynamic_stack: false
    .vgpr_count:     256
    .vgpr_spill_count: 23
    .wavefront_size: 32
    .workgroup_processor_mode: 1
amdhsa.target:   amdgcn-amd-amdhsa--gfx1100
amdhsa.version:
  - 1
  - 2
...

	.end_amdgpu_metadata
